;; amdgpu-corpus repo=ROCm/hip-tests kind=compiled arch=gfx1250 opt=O3
	.amdgcn_target "amdgcn-amd-amdhsa--gfx1250"
	.amdhsa_code_object_version 6
	.section	.text._ZL32kernel_cg_group_partition_staticILj2EEvPi19TiledGroupShflTests,"axG",@progbits,_ZL32kernel_cg_group_partition_staticILj2EEvPi19TiledGroupShflTests,comdat
	.globl	_ZL32kernel_cg_group_partition_staticILj2EEvPi19TiledGroupShflTests ; -- Begin function _ZL32kernel_cg_group_partition_staticILj2EEvPi19TiledGroupShflTests
	.p2align	8
	.type	_ZL32kernel_cg_group_partition_staticILj2EEvPi19TiledGroupShflTests,@function
_ZL32kernel_cg_group_partition_staticILj2EEvPi19TiledGroupShflTests: ; @_ZL32kernel_cg_group_partition_staticILj2EEvPi19TiledGroupShflTests
; %bb.0:
	s_load_b32 s2, s[0:1], 0x1c
	v_bfe_u32 v1, v0, 10, 10
	v_bfe_u32 v2, v0, 20, 10
	v_and_b32_e32 v0, 0x3ff, v0
	s_add_nc_u64 s[8:9], s[0:1], 16
	s_mov_b32 s18, exec_lo
	s_wait_kmcnt 0x0
	s_lshr_b32 s19, s2, 16
	s_and_b32 s20, s2, 0xffff
	v_mad_u32_u24 v1, v2, s19, v1
	s_delay_alu instid0(VALU_DEP_1) | instskip(NEXT) | instid1(VALU_DEP_1)
	v_mad_u32 v36, v1, s20, v0
	v_cmpx_eq_u32_e32 0, v36
	s_cbranch_execz .LBB0_186
; %bb.1:
	s_clause 0x1
	s_load_b32 s21, s[8:9], 0x10
	s_load_b64 s[4:5], s[8:9], 0x50
	v_mbcnt_lo_u32_b32 v29, -1, 0
	v_mov_b64_e32 v[2:3], 0
	s_delay_alu instid0(VALU_DEP_2) | instskip(NEXT) | instid1(VALU_DEP_1)
	v_readfirstlane_b32 s2, v29
	v_cmp_eq_u32_e64 s2, s2, v29
	s_and_saveexec_b32 s3, s2
	s_cbranch_execz .LBB0_7
; %bb.2:
	v_mov_b32_e32 v0, 0
	s_mov_b32 s6, exec_lo
	s_wait_kmcnt 0x0
	global_load_b64 v[4:5], v0, s[4:5] offset:24 scope:SCOPE_SYS
	s_wait_loadcnt 0x0
	global_inv scope:SCOPE_SYS
	s_clause 0x1
	global_load_b64 v[2:3], v0, s[4:5] offset:40
	global_load_b64 v[6:7], v0, s[4:5]
	s_wait_loadcnt 0x1
	v_and_b32_e32 v2, v2, v4
	v_and_b32_e32 v3, v3, v5
	s_delay_alu instid0(VALU_DEP_1) | instskip(SKIP_1) | instid1(VALU_DEP_1)
	v_mul_u64_e32 v[2:3], 24, v[2:3]
	s_wait_loadcnt 0x0
	v_add_nc_u64_e32 v[2:3], v[6:7], v[2:3]
	global_load_b64 v[2:3], v[2:3], off scope:SCOPE_SYS
	s_wait_xcnt 0x0
	s_wait_loadcnt 0x0
	global_atomic_cmpswap_b64 v[2:3], v0, v[2:5], s[4:5] offset:24 th:TH_ATOMIC_RETURN scope:SCOPE_SYS
	s_wait_loadcnt 0x0
	global_inv scope:SCOPE_SYS
	s_wait_xcnt 0x0
	v_cmpx_ne_u64_e64 v[2:3], v[4:5]
	s_cbranch_execz .LBB0_6
; %bb.3:
	s_mov_b32 s7, 0
.LBB0_4:                                ; =>This Inner Loop Header: Depth=1
	s_sleep 1
	s_clause 0x1
	global_load_b64 v[6:7], v0, s[4:5] offset:40
	global_load_b64 v[8:9], v0, s[4:5]
	v_mov_b64_e32 v[4:5], v[2:3]
	s_wait_loadcnt 0x1
	s_delay_alu instid0(VALU_DEP_1) | instskip(SKIP_1) | instid1(VALU_DEP_1)
	v_and_b32_e32 v1, v6, v4
	s_wait_loadcnt 0x0
	v_mad_nc_u64_u32 v[2:3], v1, 24, v[8:9]
	s_delay_alu instid0(VALU_DEP_3) | instskip(NEXT) | instid1(VALU_DEP_1)
	v_and_b32_e32 v1, v7, v5
	v_mad_u32 v3, v1, 24, v3
	global_load_b64 v[2:3], v[2:3], off scope:SCOPE_SYS
	s_wait_xcnt 0x0
	s_wait_loadcnt 0x0
	global_atomic_cmpswap_b64 v[2:3], v0, v[2:5], s[4:5] offset:24 th:TH_ATOMIC_RETURN scope:SCOPE_SYS
	s_wait_loadcnt 0x0
	global_inv scope:SCOPE_SYS
	v_cmp_eq_u64_e32 vcc_lo, v[2:3], v[4:5]
	s_or_b32 s7, vcc_lo, s7
	s_wait_xcnt 0x0
	s_and_not1_b32 exec_lo, exec_lo, s7
	s_cbranch_execnz .LBB0_4
; %bb.5:
	s_or_b32 exec_lo, exec_lo, s7
.LBB0_6:
	s_delay_alu instid0(SALU_CYCLE_1)
	s_or_b32 exec_lo, exec_lo, s6
.LBB0_7:
	s_delay_alu instid0(SALU_CYCLE_1)
	s_or_b32 exec_lo, exec_lo, s3
	v_readfirstlane_b32 s6, v2
	v_mov_b32_e32 v1, 0
	v_readfirstlane_b32 s7, v3
	s_mov_b32 s3, exec_lo
	s_wait_kmcnt 0x0
	s_clause 0x1
	global_load_b64 v[8:9], v1, s[4:5] offset:40
	global_load_b128 v[4:7], v1, s[4:5]
	s_wait_loadcnt 0x1
	v_and_b32_e32 v10, s6, v8
	v_and_b32_e32 v11, s7, v9
	s_delay_alu instid0(VALU_DEP_1) | instskip(SKIP_1) | instid1(VALU_DEP_1)
	v_mul_u64_e32 v[2:3], 24, v[10:11]
	s_wait_loadcnt 0x0
	v_add_nc_u64_e32 v[8:9], v[4:5], v[2:3]
	s_and_saveexec_b32 s10, s2
	s_cbranch_execz .LBB0_9
; %bb.8:
	v_mov_b64_e32 v[2:3], 0x100000002
	v_mov_b32_e32 v0, s3
	global_store_b128 v[8:9], v[0:3], off offset:8
.LBB0_9:
	s_wait_xcnt 0x0
	s_or_b32 exec_lo, exec_lo, s10
	v_lshlrev_b64_e32 v[2:3], 12, v[10:11]
	s_mov_b32 s12, 0
	v_dual_lshlrev_b32 v0, 6, v29 :: v_dual_mov_b32 v10, 33
	s_mov_b32 s14, s12
	s_mov_b32 s15, s12
	;; [unrolled: 1-line block ×3, first 2 shown]
	s_delay_alu instid0(VALU_DEP_2)
	v_add_nc_u64_e32 v[6:7], v[6:7], v[2:3]
	v_mov_b64_e32 v[16:17], s[14:15]
	v_mov_b64_e32 v[14:15], s[12:13]
	v_dual_mov_b32 v11, v1 :: v_dual_mov_b32 v12, v1
	v_mov_b32_e32 v13, v1
	v_readfirstlane_b32 s10, v6
	v_readfirstlane_b32 s11, v7
	s_clause 0x3
	global_store_b128 v0, v[10:13], s[10:11]
	global_store_b128 v0, v[14:17], s[10:11] offset:16
	global_store_b128 v0, v[14:17], s[10:11] offset:32
	;; [unrolled: 1-line block ×3, first 2 shown]
	s_wait_xcnt 0x0
	s_and_saveexec_b32 s3, s2
	s_cbranch_execz .LBB0_17
; %bb.10:
	v_dual_mov_b32 v12, 0 :: v_dual_mov_b32 v15, s7
	s_mov_b32 s10, exec_lo
	s_clause 0x1
	global_load_b64 v[16:17], v12, s[4:5] offset:32 scope:SCOPE_SYS
	global_load_b64 v[2:3], v12, s[4:5] offset:40
	s_wait_loadcnt 0x0
	v_dual_mov_b32 v14, s6 :: v_dual_bitop2_b32 v3, s7, v3 bitop3:0x40
	v_and_b32_e32 v2, s6, v2
	s_delay_alu instid0(VALU_DEP_1) | instskip(NEXT) | instid1(VALU_DEP_1)
	v_mul_u64_e32 v[2:3], 24, v[2:3]
	v_add_nc_u64_e32 v[10:11], v[4:5], v[2:3]
	global_store_b64 v[10:11], v[16:17], off
	global_wb scope:SCOPE_SYS
	s_wait_storecnt 0x0
	s_wait_xcnt 0x0
	global_atomic_cmpswap_b64 v[4:5], v12, v[14:17], s[4:5] offset:32 th:TH_ATOMIC_RETURN scope:SCOPE_SYS
	s_wait_loadcnt 0x0
	v_cmpx_ne_u64_e64 v[4:5], v[16:17]
	s_cbranch_execz .LBB0_13
; %bb.11:
	s_mov_b32 s11, 0
.LBB0_12:                               ; =>This Inner Loop Header: Depth=1
	v_dual_mov_b32 v2, s6 :: v_dual_mov_b32 v3, s7
	s_sleep 1
	global_store_b64 v[10:11], v[4:5], off
	global_wb scope:SCOPE_SYS
	s_wait_storecnt 0x0
	s_wait_xcnt 0x0
	global_atomic_cmpswap_b64 v[2:3], v12, v[2:5], s[4:5] offset:32 th:TH_ATOMIC_RETURN scope:SCOPE_SYS
	s_wait_loadcnt 0x0
	v_cmp_eq_u64_e32 vcc_lo, v[2:3], v[4:5]
	v_mov_b64_e32 v[4:5], v[2:3]
	s_or_b32 s11, vcc_lo, s11
	s_delay_alu instid0(SALU_CYCLE_1)
	s_and_not1_b32 exec_lo, exec_lo, s11
	s_cbranch_execnz .LBB0_12
.LBB0_13:
	s_or_b32 exec_lo, exec_lo, s10
	v_mov_b32_e32 v5, 0
	s_mov_b32 s11, exec_lo
	s_mov_b32 s10, exec_lo
	v_mbcnt_lo_u32_b32 v4, s11, 0
	global_load_b64 v[2:3], v5, s[4:5] offset:16
	s_wait_xcnt 0x0
	v_cmpx_eq_u32_e32 0, v4
	s_cbranch_execz .LBB0_15
; %bb.14:
	s_bcnt1_i32_b32 s11, s11
	s_delay_alu instid0(SALU_CYCLE_1)
	v_mov_b32_e32 v4, s11
	global_wb scope:SCOPE_SYS
	s_wait_loadcnt 0x0
	s_wait_storecnt 0x0
	global_atomic_add_u64 v[2:3], v[4:5], off offset:8 scope:SCOPE_SYS
.LBB0_15:
	s_wait_xcnt 0x0
	s_or_b32 exec_lo, exec_lo, s10
	s_wait_loadcnt 0x0
	global_load_b64 v[4:5], v[2:3], off offset:16
	s_wait_loadcnt 0x0
	v_cmp_eq_u64_e32 vcc_lo, 0, v[4:5]
	s_cbranch_vccnz .LBB0_17
; %bb.16:
	global_load_b32 v2, v[2:3], off offset:24
	s_wait_xcnt 0x0
	v_mov_b32_e32 v3, 0
	s_wait_loadcnt 0x0
	v_readfirstlane_b32 s10, v2
	global_wb scope:SCOPE_SYS
	s_wait_storecnt 0x0
	global_store_b64 v[4:5], v[2:3], off scope:SCOPE_SYS
	s_and_b32 m0, s10, 0xffffff
	s_sendmsg sendmsg(MSG_INTERRUPT)
.LBB0_17:
	s_wait_xcnt 0x0
	s_or_b32 exec_lo, exec_lo, s3
	v_add_nc_u64_e32 v[2:3], v[6:7], v[0:1]
	s_branch .LBB0_21
.LBB0_18:                               ;   in Loop: Header=BB0_21 Depth=1
	s_wait_xcnt 0x0
	s_or_b32 exec_lo, exec_lo, s3
	s_delay_alu instid0(VALU_DEP_1)
	v_readfirstlane_b32 s3, v1
	s_cmp_eq_u32 s3, 0
	s_cbranch_scc1 .LBB0_20
; %bb.19:                               ;   in Loop: Header=BB0_21 Depth=1
	s_sleep 1
	s_cbranch_execnz .LBB0_21
	s_branch .LBB0_23
.LBB0_20:
	s_branch .LBB0_23
.LBB0_21:                               ; =>This Inner Loop Header: Depth=1
	v_mov_b32_e32 v1, 1
	s_and_saveexec_b32 s3, s2
	s_cbranch_execz .LBB0_18
; %bb.22:                               ;   in Loop: Header=BB0_21 Depth=1
	global_load_b32 v1, v[8:9], off offset:20 scope:SCOPE_SYS
	s_wait_loadcnt 0x0
	global_inv scope:SCOPE_SYS
	v_and_b32_e32 v1, 1, v1
	s_branch .LBB0_18
.LBB0_23:
	global_load_b64 v[2:3], v[2:3], off
	s_wait_xcnt 0x0
	s_and_saveexec_b32 s10, s2
	s_cbranch_execz .LBB0_27
; %bb.24:
	v_mov_b32_e32 v1, 0
	s_clause 0x2
	global_load_b64 v[4:5], v1, s[4:5] offset:40
	global_load_b64 v[12:13], v1, s[4:5] offset:24 scope:SCOPE_SYS
	global_load_b64 v[6:7], v1, s[4:5]
	s_wait_loadcnt 0x2
	v_readfirstlane_b32 s12, v4
	v_readfirstlane_b32 s13, v5
	s_add_nc_u64 s[2:3], s[12:13], 1
	s_delay_alu instid0(SALU_CYCLE_1) | instskip(NEXT) | instid1(SALU_CYCLE_1)
	s_add_nc_u64 s[6:7], s[2:3], s[6:7]
	s_cmp_eq_u64 s[6:7], 0
	s_cselect_b32 s3, s3, s7
	s_cselect_b32 s2, s2, s6
	v_mov_b32_e32 v11, s3
	s_and_b64 s[6:7], s[2:3], s[12:13]
	v_mov_b32_e32 v10, s2
	s_mul_u64 s[6:7], s[6:7], 24
	s_wait_loadcnt 0x0
	v_add_nc_u64_e32 v[8:9], s[6:7], v[6:7]
	global_store_b64 v[8:9], v[12:13], off
	global_wb scope:SCOPE_SYS
	s_wait_storecnt 0x0
	s_wait_xcnt 0x0
	global_atomic_cmpswap_b64 v[6:7], v1, v[10:13], s[4:5] offset:24 th:TH_ATOMIC_RETURN scope:SCOPE_SYS
	s_wait_loadcnt 0x0
	v_cmp_ne_u64_e32 vcc_lo, v[6:7], v[12:13]
	s_and_b32 exec_lo, exec_lo, vcc_lo
	s_cbranch_execz .LBB0_27
; %bb.25:
	s_mov_b32 s6, 0
.LBB0_26:                               ; =>This Inner Loop Header: Depth=1
	v_dual_mov_b32 v4, s2 :: v_dual_mov_b32 v5, s3
	s_sleep 1
	global_store_b64 v[8:9], v[6:7], off
	global_wb scope:SCOPE_SYS
	s_wait_storecnt 0x0
	s_wait_xcnt 0x0
	global_atomic_cmpswap_b64 v[4:5], v1, v[4:7], s[4:5] offset:24 th:TH_ATOMIC_RETURN scope:SCOPE_SYS
	s_wait_loadcnt 0x0
	v_cmp_eq_u64_e32 vcc_lo, v[4:5], v[6:7]
	v_mov_b64_e32 v[6:7], v[4:5]
	s_or_b32 s6, vcc_lo, s6
	s_delay_alu instid0(SALU_CYCLE_1)
	s_and_not1_b32 exec_lo, exec_lo, s6
	s_cbranch_execnz .LBB0_26
.LBB0_27:
	s_or_b32 exec_lo, exec_lo, s10
	s_get_pc_i64 s[6:7]
	s_add_nc_u64 s[6:7], s[6:7], .str@rel64+4
	s_delay_alu instid0(SALU_CYCLE_1)
	s_cmp_lg_u64 s[6:7], 0
	s_cbranch_scc0 .LBB0_106
; %bb.28:
	v_mov_b64_e32 v[10:11], 0x100000002
	s_wait_loadcnt 0x0
	v_dual_mov_b32 v9, 0 :: v_dual_bitop2_b32 v28, 2, v2 bitop3:0x40
	v_dual_mov_b32 v5, v3 :: v_dual_bitop2_b32 v4, -3, v2 bitop3:0x40
	s_mov_b64 s[10:11], 48
	s_branch .LBB0_30
.LBB0_29:                               ;   in Loop: Header=BB0_30 Depth=1
	s_or_b32 exec_lo, exec_lo, s16
	s_sub_nc_u64 s[10:11], s[10:11], s[12:13]
	s_add_nc_u64 s[6:7], s[6:7], s[12:13]
	s_cmp_lg_u64 s[10:11], 0
	s_cbranch_scc0 .LBB0_105
.LBB0_30:                               ; =>This Loop Header: Depth=1
                                        ;     Child Loop BB0_33 Depth 2
                                        ;     Child Loop BB0_40 Depth 2
                                        ;     Child Loop BB0_47 Depth 2
                                        ;     Child Loop BB0_54 Depth 2
                                        ;     Child Loop BB0_61 Depth 2
                                        ;     Child Loop BB0_68 Depth 2
                                        ;     Child Loop BB0_75 Depth 2
                                        ;     Child Loop BB0_82 Depth 2
                                        ;     Child Loop BB0_90 Depth 2
                                        ;     Child Loop BB0_99 Depth 2
                                        ;     Child Loop BB0_104 Depth 2
	v_min_u64 v[6:7], s[10:11], 56
	v_cmp_gt_u64_e64 s2, s[10:11], 7
	s_and_b32 vcc_lo, exec_lo, s2
	v_readfirstlane_b32 s12, v6
	v_readfirstlane_b32 s13, v7
	s_cbranch_vccnz .LBB0_35
; %bb.31:                               ;   in Loop: Header=BB0_30 Depth=1
	v_mov_b64_e32 v[6:7], 0
	s_cmp_eq_u64 s[10:11], 0
	s_cbranch_scc1 .LBB0_34
; %bb.32:                               ;   in Loop: Header=BB0_30 Depth=1
	s_mov_b64 s[2:3], 0
	s_mov_b64 s[14:15], 0
.LBB0_33:                               ;   Parent Loop BB0_30 Depth=1
                                        ; =>  This Inner Loop Header: Depth=2
	s_wait_xcnt 0x0
	s_add_nc_u64 s[16:17], s[6:7], s[14:15]
	s_add_nc_u64 s[14:15], s[14:15], 1
	global_load_u8 v1, v9, s[16:17]
	s_cmp_lg_u32 s12, s14
	s_wait_loadcnt 0x0
	v_and_b32_e32 v8, 0xffff, v1
	s_delay_alu instid0(VALU_DEP_1) | instskip(SKIP_1) | instid1(VALU_DEP_1)
	v_lshlrev_b64_e32 v[12:13], s2, v[8:9]
	s_add_nc_u64 s[2:3], s[2:3], 8
	v_or_b32_e32 v6, v12, v6
	s_delay_alu instid0(VALU_DEP_2)
	v_or_b32_e32 v7, v13, v7
	s_cbranch_scc1 .LBB0_33
.LBB0_34:                               ;   in Loop: Header=BB0_30 Depth=1
	s_mov_b64 s[14:15], s[6:7]
	s_mov_b32 s22, 0
	s_cbranch_execz .LBB0_36
	s_branch .LBB0_37
.LBB0_35:                               ;   in Loop: Header=BB0_30 Depth=1
	s_add_nc_u64 s[14:15], s[6:7], 8
	s_mov_b32 s22, 0
.LBB0_36:                               ;   in Loop: Header=BB0_30 Depth=1
	global_load_b64 v[6:7], v9, s[6:7]
	s_add_co_i32 s22, s12, -8
.LBB0_37:                               ;   in Loop: Header=BB0_30 Depth=1
	s_delay_alu instid0(SALU_CYCLE_1)
	s_cmp_gt_u32 s22, 7
	s_cbranch_scc1 .LBB0_42
; %bb.38:                               ;   in Loop: Header=BB0_30 Depth=1
	v_mov_b64_e32 v[12:13], 0
	s_cmp_eq_u32 s22, 0
	s_cbranch_scc1 .LBB0_41
; %bb.39:                               ;   in Loop: Header=BB0_30 Depth=1
	s_mov_b64 s[2:3], 0
	s_wait_xcnt 0x0
	s_mov_b64 s[16:17], 0
.LBB0_40:                               ;   Parent Loop BB0_30 Depth=1
                                        ; =>  This Inner Loop Header: Depth=2
	s_wait_xcnt 0x0
	s_add_nc_u64 s[24:25], s[14:15], s[16:17]
	s_add_nc_u64 s[16:17], s[16:17], 1
	global_load_u8 v1, v9, s[24:25]
	s_cmp_lg_u32 s22, s16
	s_wait_loadcnt 0x0
	v_and_b32_e32 v8, 0xffff, v1
	s_delay_alu instid0(VALU_DEP_1) | instskip(SKIP_1) | instid1(VALU_DEP_1)
	v_lshlrev_b64_e32 v[14:15], s2, v[8:9]
	s_add_nc_u64 s[2:3], s[2:3], 8
	v_or_b32_e32 v12, v14, v12
	s_delay_alu instid0(VALU_DEP_2)
	v_or_b32_e32 v13, v15, v13
	s_cbranch_scc1 .LBB0_40
.LBB0_41:                               ;   in Loop: Header=BB0_30 Depth=1
	s_wait_xcnt 0x0
	s_mov_b64 s[2:3], s[14:15]
	s_mov_b32 s23, 0
	s_cbranch_execz .LBB0_43
	s_branch .LBB0_44
.LBB0_42:                               ;   in Loop: Header=BB0_30 Depth=1
	s_add_nc_u64 s[2:3], s[14:15], 8
	s_wait_xcnt 0x0
                                        ; implicit-def: $vgpr12_vgpr13
	s_mov_b32 s23, 0
.LBB0_43:                               ;   in Loop: Header=BB0_30 Depth=1
	global_load_b64 v[12:13], v9, s[14:15]
	s_add_co_i32 s23, s22, -8
.LBB0_44:                               ;   in Loop: Header=BB0_30 Depth=1
	s_delay_alu instid0(SALU_CYCLE_1)
	s_cmp_gt_u32 s23, 7
	s_cbranch_scc1 .LBB0_49
; %bb.45:                               ;   in Loop: Header=BB0_30 Depth=1
	v_mov_b64_e32 v[14:15], 0
	s_cmp_eq_u32 s23, 0
	s_cbranch_scc1 .LBB0_48
; %bb.46:                               ;   in Loop: Header=BB0_30 Depth=1
	s_wait_xcnt 0x0
	s_mov_b64 s[14:15], 0
	s_mov_b64 s[16:17], 0
.LBB0_47:                               ;   Parent Loop BB0_30 Depth=1
                                        ; =>  This Inner Loop Header: Depth=2
	s_wait_xcnt 0x0
	s_add_nc_u64 s[24:25], s[2:3], s[16:17]
	s_add_nc_u64 s[16:17], s[16:17], 1
	global_load_u8 v1, v9, s[24:25]
	s_cmp_lg_u32 s23, s16
	s_wait_loadcnt 0x0
	v_and_b32_e32 v8, 0xffff, v1
	s_delay_alu instid0(VALU_DEP_1) | instskip(SKIP_1) | instid1(VALU_DEP_1)
	v_lshlrev_b64_e32 v[16:17], s14, v[8:9]
	s_add_nc_u64 s[14:15], s[14:15], 8
	v_or_b32_e32 v14, v16, v14
	s_delay_alu instid0(VALU_DEP_2)
	v_or_b32_e32 v15, v17, v15
	s_cbranch_scc1 .LBB0_47
.LBB0_48:                               ;   in Loop: Header=BB0_30 Depth=1
	s_wait_xcnt 0x0
	s_mov_b64 s[14:15], s[2:3]
	s_mov_b32 s22, 0
	s_cbranch_execz .LBB0_50
	s_branch .LBB0_51
.LBB0_49:                               ;   in Loop: Header=BB0_30 Depth=1
	s_wait_xcnt 0x0
	s_add_nc_u64 s[14:15], s[2:3], 8
	s_mov_b32 s22, 0
.LBB0_50:                               ;   in Loop: Header=BB0_30 Depth=1
	global_load_b64 v[14:15], v9, s[2:3]
	s_add_co_i32 s22, s23, -8
.LBB0_51:                               ;   in Loop: Header=BB0_30 Depth=1
	s_delay_alu instid0(SALU_CYCLE_1)
	s_cmp_gt_u32 s22, 7
	s_cbranch_scc1 .LBB0_56
; %bb.52:                               ;   in Loop: Header=BB0_30 Depth=1
	v_mov_b64_e32 v[16:17], 0
	s_cmp_eq_u32 s22, 0
	s_cbranch_scc1 .LBB0_55
; %bb.53:                               ;   in Loop: Header=BB0_30 Depth=1
	s_wait_xcnt 0x0
	s_mov_b64 s[2:3], 0
	s_mov_b64 s[16:17], 0
.LBB0_54:                               ;   Parent Loop BB0_30 Depth=1
                                        ; =>  This Inner Loop Header: Depth=2
	s_wait_xcnt 0x0
	s_add_nc_u64 s[24:25], s[14:15], s[16:17]
	s_add_nc_u64 s[16:17], s[16:17], 1
	global_load_u8 v1, v9, s[24:25]
	s_cmp_lg_u32 s22, s16
	s_wait_loadcnt 0x0
	v_and_b32_e32 v8, 0xffff, v1
	s_delay_alu instid0(VALU_DEP_1) | instskip(SKIP_1) | instid1(VALU_DEP_1)
	v_lshlrev_b64_e32 v[18:19], s2, v[8:9]
	s_add_nc_u64 s[2:3], s[2:3], 8
	v_or_b32_e32 v16, v18, v16
	s_delay_alu instid0(VALU_DEP_2)
	v_or_b32_e32 v17, v19, v17
	s_cbranch_scc1 .LBB0_54
.LBB0_55:                               ;   in Loop: Header=BB0_30 Depth=1
	s_wait_xcnt 0x0
	s_mov_b64 s[2:3], s[14:15]
	s_mov_b32 s23, 0
	s_cbranch_execz .LBB0_57
	s_branch .LBB0_58
.LBB0_56:                               ;   in Loop: Header=BB0_30 Depth=1
	s_wait_xcnt 0x0
	s_add_nc_u64 s[2:3], s[14:15], 8
                                        ; implicit-def: $vgpr16_vgpr17
	s_mov_b32 s23, 0
.LBB0_57:                               ;   in Loop: Header=BB0_30 Depth=1
	global_load_b64 v[16:17], v9, s[14:15]
	s_add_co_i32 s23, s22, -8
.LBB0_58:                               ;   in Loop: Header=BB0_30 Depth=1
	s_delay_alu instid0(SALU_CYCLE_1)
	s_cmp_gt_u32 s23, 7
	s_cbranch_scc1 .LBB0_63
; %bb.59:                               ;   in Loop: Header=BB0_30 Depth=1
	v_mov_b64_e32 v[18:19], 0
	s_cmp_eq_u32 s23, 0
	s_cbranch_scc1 .LBB0_62
; %bb.60:                               ;   in Loop: Header=BB0_30 Depth=1
	s_wait_xcnt 0x0
	s_mov_b64 s[14:15], 0
	s_mov_b64 s[16:17], 0
.LBB0_61:                               ;   Parent Loop BB0_30 Depth=1
                                        ; =>  This Inner Loop Header: Depth=2
	s_wait_xcnt 0x0
	s_add_nc_u64 s[24:25], s[2:3], s[16:17]
	s_add_nc_u64 s[16:17], s[16:17], 1
	global_load_u8 v1, v9, s[24:25]
	s_cmp_lg_u32 s23, s16
	s_wait_loadcnt 0x0
	v_and_b32_e32 v8, 0xffff, v1
	s_delay_alu instid0(VALU_DEP_1) | instskip(SKIP_1) | instid1(VALU_DEP_1)
	v_lshlrev_b64_e32 v[20:21], s14, v[8:9]
	s_add_nc_u64 s[14:15], s[14:15], 8
	v_or_b32_e32 v18, v20, v18
	s_delay_alu instid0(VALU_DEP_2)
	v_or_b32_e32 v19, v21, v19
	s_cbranch_scc1 .LBB0_61
.LBB0_62:                               ;   in Loop: Header=BB0_30 Depth=1
	s_wait_xcnt 0x0
	s_mov_b64 s[14:15], s[2:3]
	s_mov_b32 s22, 0
	s_cbranch_execz .LBB0_64
	s_branch .LBB0_65
.LBB0_63:                               ;   in Loop: Header=BB0_30 Depth=1
	s_wait_xcnt 0x0
	s_add_nc_u64 s[14:15], s[2:3], 8
	s_mov_b32 s22, 0
.LBB0_64:                               ;   in Loop: Header=BB0_30 Depth=1
	global_load_b64 v[18:19], v9, s[2:3]
	s_add_co_i32 s22, s23, -8
.LBB0_65:                               ;   in Loop: Header=BB0_30 Depth=1
	s_delay_alu instid0(SALU_CYCLE_1)
	s_cmp_gt_u32 s22, 7
	s_cbranch_scc1 .LBB0_70
; %bb.66:                               ;   in Loop: Header=BB0_30 Depth=1
	v_mov_b64_e32 v[20:21], 0
	s_cmp_eq_u32 s22, 0
	s_cbranch_scc1 .LBB0_69
; %bb.67:                               ;   in Loop: Header=BB0_30 Depth=1
	s_wait_xcnt 0x0
	s_mov_b64 s[2:3], 0
	s_mov_b64 s[16:17], 0
.LBB0_68:                               ;   Parent Loop BB0_30 Depth=1
                                        ; =>  This Inner Loop Header: Depth=2
	s_wait_xcnt 0x0
	s_add_nc_u64 s[24:25], s[14:15], s[16:17]
	s_add_nc_u64 s[16:17], s[16:17], 1
	global_load_u8 v1, v9, s[24:25]
	s_cmp_lg_u32 s22, s16
	s_wait_loadcnt 0x0
	v_and_b32_e32 v8, 0xffff, v1
	s_delay_alu instid0(VALU_DEP_1) | instskip(SKIP_1) | instid1(VALU_DEP_1)
	v_lshlrev_b64_e32 v[22:23], s2, v[8:9]
	s_add_nc_u64 s[2:3], s[2:3], 8
	v_or_b32_e32 v20, v22, v20
	s_delay_alu instid0(VALU_DEP_2)
	v_or_b32_e32 v21, v23, v21
	s_cbranch_scc1 .LBB0_68
.LBB0_69:                               ;   in Loop: Header=BB0_30 Depth=1
	s_wait_xcnt 0x0
	s_mov_b64 s[2:3], s[14:15]
	s_mov_b32 s23, 0
	s_cbranch_execz .LBB0_71
	s_branch .LBB0_72
.LBB0_70:                               ;   in Loop: Header=BB0_30 Depth=1
	s_wait_xcnt 0x0
	s_add_nc_u64 s[2:3], s[14:15], 8
                                        ; implicit-def: $vgpr20_vgpr21
	s_mov_b32 s23, 0
.LBB0_71:                               ;   in Loop: Header=BB0_30 Depth=1
	global_load_b64 v[20:21], v9, s[14:15]
	s_add_co_i32 s23, s22, -8
.LBB0_72:                               ;   in Loop: Header=BB0_30 Depth=1
	s_delay_alu instid0(SALU_CYCLE_1)
	s_cmp_gt_u32 s23, 7
	s_cbranch_scc1 .LBB0_77
; %bb.73:                               ;   in Loop: Header=BB0_30 Depth=1
	v_mov_b64_e32 v[22:23], 0
	s_cmp_eq_u32 s23, 0
	s_cbranch_scc1 .LBB0_76
; %bb.74:                               ;   in Loop: Header=BB0_30 Depth=1
	s_wait_xcnt 0x0
	s_mov_b64 s[14:15], 0
	s_mov_b64 s[16:17], s[2:3]
.LBB0_75:                               ;   Parent Loop BB0_30 Depth=1
                                        ; =>  This Inner Loop Header: Depth=2
	global_load_u8 v1, v9, s[16:17]
	s_add_co_i32 s23, s23, -1
	s_wait_xcnt 0x0
	s_add_nc_u64 s[16:17], s[16:17], 1
	s_cmp_lg_u32 s23, 0
	s_wait_loadcnt 0x0
	v_and_b32_e32 v8, 0xffff, v1
	s_delay_alu instid0(VALU_DEP_1) | instskip(SKIP_1) | instid1(VALU_DEP_1)
	v_lshlrev_b64_e32 v[24:25], s14, v[8:9]
	s_add_nc_u64 s[14:15], s[14:15], 8
	v_or_b32_e32 v22, v24, v22
	s_delay_alu instid0(VALU_DEP_2)
	v_or_b32_e32 v23, v25, v23
	s_cbranch_scc1 .LBB0_75
.LBB0_76:                               ;   in Loop: Header=BB0_30 Depth=1
	s_wait_xcnt 0x0
	s_cbranch_execz .LBB0_78
	s_branch .LBB0_79
.LBB0_77:                               ;   in Loop: Header=BB0_30 Depth=1
	s_wait_xcnt 0x0
.LBB0_78:                               ;   in Loop: Header=BB0_30 Depth=1
	global_load_b64 v[22:23], v9, s[2:3]
.LBB0_79:                               ;   in Loop: Header=BB0_30 Depth=1
	s_wait_xcnt 0x0
	v_readfirstlane_b32 s2, v29
	v_mov_b64_e32 v[30:31], 0
	s_delay_alu instid0(VALU_DEP_2)
	v_cmp_eq_u32_e64 s2, s2, v29
	s_and_saveexec_b32 s3, s2
	s_cbranch_execz .LBB0_85
; %bb.80:                               ;   in Loop: Header=BB0_30 Depth=1
	global_load_b64 v[26:27], v9, s[4:5] offset:24 scope:SCOPE_SYS
	s_wait_loadcnt 0x0
	global_inv scope:SCOPE_SYS
	s_clause 0x1
	global_load_b64 v[24:25], v9, s[4:5] offset:40
	global_load_b64 v[30:31], v9, s[4:5]
	s_mov_b32 s14, exec_lo
	s_wait_loadcnt 0x1
	v_and_b32_e32 v24, v24, v26
	v_and_b32_e32 v25, v25, v27
	s_delay_alu instid0(VALU_DEP_1) | instskip(SKIP_1) | instid1(VALU_DEP_1)
	v_mul_u64_e32 v[24:25], 24, v[24:25]
	s_wait_loadcnt 0x0
	v_add_nc_u64_e32 v[24:25], v[30:31], v[24:25]
	global_load_b64 v[24:25], v[24:25], off scope:SCOPE_SYS
	s_wait_xcnt 0x0
	s_wait_loadcnt 0x0
	global_atomic_cmpswap_b64 v[30:31], v9, v[24:27], s[4:5] offset:24 th:TH_ATOMIC_RETURN scope:SCOPE_SYS
	s_wait_loadcnt 0x0
	global_inv scope:SCOPE_SYS
	s_wait_xcnt 0x0
	v_cmpx_ne_u64_e64 v[30:31], v[26:27]
	s_cbranch_execz .LBB0_84
; %bb.81:                               ;   in Loop: Header=BB0_30 Depth=1
	s_mov_b32 s15, 0
.LBB0_82:                               ;   Parent Loop BB0_30 Depth=1
                                        ; =>  This Inner Loop Header: Depth=2
	s_sleep 1
	s_clause 0x1
	global_load_b64 v[24:25], v9, s[4:5] offset:40
	global_load_b64 v[32:33], v9, s[4:5]
	v_mov_b64_e32 v[26:27], v[30:31]
	s_wait_loadcnt 0x1
	s_delay_alu instid0(VALU_DEP_1) | instskip(SKIP_1) | instid1(VALU_DEP_1)
	v_and_b32_e32 v1, v24, v26
	s_wait_loadcnt 0x0
	v_mad_nc_u64_u32 v[30:31], v1, 24, v[32:33]
	s_delay_alu instid0(VALU_DEP_3) | instskip(NEXT) | instid1(VALU_DEP_1)
	v_and_b32_e32 v1, v25, v27
	v_mad_u32 v31, v1, 24, v31
	global_load_b64 v[24:25], v[30:31], off scope:SCOPE_SYS
	s_wait_xcnt 0x0
	s_wait_loadcnt 0x0
	global_atomic_cmpswap_b64 v[30:31], v9, v[24:27], s[4:5] offset:24 th:TH_ATOMIC_RETURN scope:SCOPE_SYS
	s_wait_loadcnt 0x0
	global_inv scope:SCOPE_SYS
	v_cmp_eq_u64_e32 vcc_lo, v[30:31], v[26:27]
	s_or_b32 s15, vcc_lo, s15
	s_wait_xcnt 0x0
	s_and_not1_b32 exec_lo, exec_lo, s15
	s_cbranch_execnz .LBB0_82
; %bb.83:                               ;   in Loop: Header=BB0_30 Depth=1
	s_or_b32 exec_lo, exec_lo, s15
.LBB0_84:                               ;   in Loop: Header=BB0_30 Depth=1
	s_delay_alu instid0(SALU_CYCLE_1)
	s_or_b32 exec_lo, exec_lo, s14
.LBB0_85:                               ;   in Loop: Header=BB0_30 Depth=1
	s_delay_alu instid0(SALU_CYCLE_1)
	s_or_b32 exec_lo, exec_lo, s3
	s_clause 0x1
	global_load_b64 v[32:33], v9, s[4:5] offset:40
	global_load_b128 v[24:27], v9, s[4:5]
	v_readfirstlane_b32 s14, v30
	v_readfirstlane_b32 s15, v31
	s_mov_b32 s3, exec_lo
	s_wait_loadcnt 0x1
	v_and_b32_e32 v32, s14, v32
	v_and_b32_e32 v33, s15, v33
	s_delay_alu instid0(VALU_DEP_1) | instskip(SKIP_1) | instid1(VALU_DEP_1)
	v_mul_u64_e32 v[30:31], 24, v[32:33]
	s_wait_loadcnt 0x0
	v_add_nc_u64_e32 v[30:31], v[24:25], v[30:31]
	s_wait_xcnt 0x0
	s_and_saveexec_b32 s16, s2
	s_cbranch_execz .LBB0_87
; %bb.86:                               ;   in Loop: Header=BB0_30 Depth=1
	v_mov_b32_e32 v8, s3
	global_store_b128 v[30:31], v[8:11], off offset:8
.LBB0_87:                               ;   in Loop: Header=BB0_30 Depth=1
	s_wait_xcnt 0x0
	s_or_b32 exec_lo, exec_lo, s16
	v_cmp_lt_u64_e64 vcc_lo, s[10:11], 57
	v_lshlrev_b64_e32 v[32:33], 12, v[32:33]
	v_and_b32_e32 v4, 0xffffff1f, v4
	s_lshl_b32 s3, s12, 2
	s_delay_alu instid0(SALU_CYCLE_1) | instskip(SKIP_1) | instid1(VALU_DEP_3)
	s_add_co_i32 s3, s3, 28
	v_cndmask_b32_e32 v1, 0, v28, vcc_lo
	v_add_nc_u64_e32 v[26:27], v[26:27], v[32:33]
	s_delay_alu instid0(VALU_DEP_2) | instskip(NEXT) | instid1(VALU_DEP_2)
	v_or_b32_e32 v1, v4, v1
	v_readfirstlane_b32 s16, v26
	s_delay_alu instid0(VALU_DEP_3) | instskip(NEXT) | instid1(VALU_DEP_3)
	v_readfirstlane_b32 s17, v27
	v_and_or_b32 v4, 0x1e0, s3, v1
	s_clause 0x3
	global_store_b128 v0, v[4:7], s[16:17]
	global_store_b128 v0, v[12:15], s[16:17] offset:16
	global_store_b128 v0, v[16:19], s[16:17] offset:32
	;; [unrolled: 1-line block ×3, first 2 shown]
	s_wait_xcnt 0x0
	s_and_saveexec_b32 s3, s2
	s_cbranch_execz .LBB0_95
; %bb.88:                               ;   in Loop: Header=BB0_30 Depth=1
	s_clause 0x1
	global_load_b64 v[16:17], v9, s[4:5] offset:32 scope:SCOPE_SYS
	global_load_b64 v[4:5], v9, s[4:5] offset:40
	s_mov_b32 s16, exec_lo
	v_dual_mov_b32 v14, s14 :: v_dual_mov_b32 v15, s15
	s_wait_loadcnt 0x0
	v_and_b32_e32 v5, s15, v5
	v_and_b32_e32 v4, s14, v4
	s_delay_alu instid0(VALU_DEP_1) | instskip(NEXT) | instid1(VALU_DEP_1)
	v_mul_u64_e32 v[4:5], 24, v[4:5]
	v_add_nc_u64_e32 v[12:13], v[24:25], v[4:5]
	global_store_b64 v[12:13], v[16:17], off
	global_wb scope:SCOPE_SYS
	s_wait_storecnt 0x0
	s_wait_xcnt 0x0
	global_atomic_cmpswap_b64 v[6:7], v9, v[14:17], s[4:5] offset:32 th:TH_ATOMIC_RETURN scope:SCOPE_SYS
	s_wait_loadcnt 0x0
	v_cmpx_ne_u64_e64 v[6:7], v[16:17]
	s_cbranch_execz .LBB0_91
; %bb.89:                               ;   in Loop: Header=BB0_30 Depth=1
	s_mov_b32 s17, 0
.LBB0_90:                               ;   Parent Loop BB0_30 Depth=1
                                        ; =>  This Inner Loop Header: Depth=2
	v_dual_mov_b32 v4, s14 :: v_dual_mov_b32 v5, s15
	s_sleep 1
	global_store_b64 v[12:13], v[6:7], off
	global_wb scope:SCOPE_SYS
	s_wait_storecnt 0x0
	s_wait_xcnt 0x0
	global_atomic_cmpswap_b64 v[4:5], v9, v[4:7], s[4:5] offset:32 th:TH_ATOMIC_RETURN scope:SCOPE_SYS
	s_wait_loadcnt 0x0
	v_cmp_eq_u64_e32 vcc_lo, v[4:5], v[6:7]
	v_mov_b64_e32 v[6:7], v[4:5]
	s_or_b32 s17, vcc_lo, s17
	s_delay_alu instid0(SALU_CYCLE_1)
	s_and_not1_b32 exec_lo, exec_lo, s17
	s_cbranch_execnz .LBB0_90
.LBB0_91:                               ;   in Loop: Header=BB0_30 Depth=1
	s_or_b32 exec_lo, exec_lo, s16
	global_load_b64 v[4:5], v9, s[4:5] offset:16
	s_mov_b32 s17, exec_lo
	s_mov_b32 s16, exec_lo
	v_mbcnt_lo_u32_b32 v1, s17, 0
	s_wait_xcnt 0x0
	s_delay_alu instid0(VALU_DEP_1)
	v_cmpx_eq_u32_e32 0, v1
	s_cbranch_execz .LBB0_93
; %bb.92:                               ;   in Loop: Header=BB0_30 Depth=1
	s_bcnt1_i32_b32 s17, s17
	s_delay_alu instid0(SALU_CYCLE_1)
	v_mov_b32_e32 v8, s17
	global_wb scope:SCOPE_SYS
	s_wait_loadcnt 0x0
	s_wait_storecnt 0x0
	global_atomic_add_u64 v[4:5], v[8:9], off offset:8 scope:SCOPE_SYS
.LBB0_93:                               ;   in Loop: Header=BB0_30 Depth=1
	s_wait_xcnt 0x0
	s_or_b32 exec_lo, exec_lo, s16
	s_wait_loadcnt 0x0
	global_load_b64 v[6:7], v[4:5], off offset:16
	s_wait_loadcnt 0x0
	v_cmp_eq_u64_e32 vcc_lo, 0, v[6:7]
	s_cbranch_vccnz .LBB0_95
; %bb.94:                               ;   in Loop: Header=BB0_30 Depth=1
	global_load_b32 v8, v[4:5], off offset:24
	s_wait_loadcnt 0x0
	v_readfirstlane_b32 s16, v8
	global_wb scope:SCOPE_SYS
	s_wait_storecnt 0x0
	s_wait_xcnt 0x0
	global_store_b64 v[6:7], v[8:9], off scope:SCOPE_SYS
	s_and_b32 m0, s16, 0xffffff
	s_sendmsg sendmsg(MSG_INTERRUPT)
.LBB0_95:                               ;   in Loop: Header=BB0_30 Depth=1
	s_wait_xcnt 0x0
	s_or_b32 exec_lo, exec_lo, s3
	v_mov_b32_e32 v1, v9
	s_delay_alu instid0(VALU_DEP_1)
	v_add_nc_u64_e32 v[4:5], v[26:27], v[0:1]
	s_branch .LBB0_99
.LBB0_96:                               ;   in Loop: Header=BB0_99 Depth=2
	s_wait_xcnt 0x0
	s_or_b32 exec_lo, exec_lo, s3
	s_delay_alu instid0(VALU_DEP_1)
	v_readfirstlane_b32 s3, v1
	s_cmp_eq_u32 s3, 0
	s_cbranch_scc1 .LBB0_98
; %bb.97:                               ;   in Loop: Header=BB0_99 Depth=2
	s_sleep 1
	s_cbranch_execnz .LBB0_99
	s_branch .LBB0_101
.LBB0_98:                               ;   in Loop: Header=BB0_30 Depth=1
	s_branch .LBB0_101
.LBB0_99:                               ;   Parent Loop BB0_30 Depth=1
                                        ; =>  This Inner Loop Header: Depth=2
	v_mov_b32_e32 v1, 1
	s_and_saveexec_b32 s3, s2
	s_cbranch_execz .LBB0_96
; %bb.100:                              ;   in Loop: Header=BB0_99 Depth=2
	global_load_b32 v1, v[30:31], off offset:20 scope:SCOPE_SYS
	s_wait_loadcnt 0x0
	global_inv scope:SCOPE_SYS
	v_and_b32_e32 v1, 1, v1
	s_branch .LBB0_96
.LBB0_101:                              ;   in Loop: Header=BB0_30 Depth=1
	global_load_b64 v[4:5], v[4:5], off
	s_wait_xcnt 0x0
	s_and_saveexec_b32 s16, s2
	s_cbranch_execz .LBB0_29
; %bb.102:                              ;   in Loop: Header=BB0_30 Depth=1
	s_clause 0x2
	global_load_b64 v[6:7], v9, s[4:5] offset:40
	global_load_b64 v[16:17], v9, s[4:5] offset:24 scope:SCOPE_SYS
	global_load_b64 v[12:13], v9, s[4:5]
	s_wait_loadcnt 0x2
	v_readfirstlane_b32 s22, v6
	v_readfirstlane_b32 s23, v7
	s_add_nc_u64 s[2:3], s[22:23], 1
	s_delay_alu instid0(SALU_CYCLE_1) | instskip(NEXT) | instid1(SALU_CYCLE_1)
	s_add_nc_u64 s[14:15], s[2:3], s[14:15]
	s_cmp_eq_u64 s[14:15], 0
	s_cselect_b32 s3, s3, s15
	s_cselect_b32 s2, s2, s14
	s_delay_alu instid0(SALU_CYCLE_1) | instskip(SKIP_1) | instid1(SALU_CYCLE_1)
	v_dual_mov_b32 v15, s3 :: v_dual_mov_b32 v14, s2
	s_and_b64 s[14:15], s[2:3], s[22:23]
	s_mul_u64 s[14:15], s[14:15], 24
	s_wait_loadcnt 0x0
	v_add_nc_u64_e32 v[6:7], s[14:15], v[12:13]
	global_store_b64 v[6:7], v[16:17], off
	global_wb scope:SCOPE_SYS
	s_wait_storecnt 0x0
	s_wait_xcnt 0x0
	global_atomic_cmpswap_b64 v[14:15], v9, v[14:17], s[4:5] offset:24 th:TH_ATOMIC_RETURN scope:SCOPE_SYS
	s_wait_loadcnt 0x0
	v_cmp_ne_u64_e32 vcc_lo, v[14:15], v[16:17]
	s_and_b32 exec_lo, exec_lo, vcc_lo
	s_cbranch_execz .LBB0_29
; %bb.103:                              ;   in Loop: Header=BB0_30 Depth=1
	s_mov_b32 s14, 0
.LBB0_104:                              ;   Parent Loop BB0_30 Depth=1
                                        ; =>  This Inner Loop Header: Depth=2
	v_dual_mov_b32 v12, s2 :: v_dual_mov_b32 v13, s3
	s_sleep 1
	global_store_b64 v[6:7], v[14:15], off
	global_wb scope:SCOPE_SYS
	s_wait_storecnt 0x0
	s_wait_xcnt 0x0
	global_atomic_cmpswap_b64 v[12:13], v9, v[12:15], s[4:5] offset:24 th:TH_ATOMIC_RETURN scope:SCOPE_SYS
	s_wait_loadcnt 0x0
	v_cmp_eq_u64_e32 vcc_lo, v[12:13], v[14:15]
	v_mov_b64_e32 v[14:15], v[12:13]
	s_or_b32 s14, vcc_lo, s14
	s_delay_alu instid0(SALU_CYCLE_1)
	s_and_not1_b32 exec_lo, exec_lo, s14
	s_cbranch_execnz .LBB0_104
	s_branch .LBB0_29
.LBB0_105:
	s_branch .LBB0_134
.LBB0_106:
                                        ; implicit-def: $vgpr4_vgpr5
	s_cbranch_execz .LBB0_134
; %bb.107:
	v_readfirstlane_b32 s2, v29
	s_wait_loadcnt 0x0
	v_mov_b64_e32 v[4:5], 0
	s_delay_alu instid0(VALU_DEP_2)
	v_cmp_eq_u32_e64 s2, s2, v29
	s_and_saveexec_b32 s3, s2
	s_cbranch_execz .LBB0_113
; %bb.108:
	v_mov_b32_e32 v1, 0
	s_mov_b32 s6, exec_lo
	global_load_b64 v[6:7], v1, s[4:5] offset:24 scope:SCOPE_SYS
	s_wait_loadcnt 0x0
	global_inv scope:SCOPE_SYS
	s_clause 0x1
	global_load_b64 v[4:5], v1, s[4:5] offset:40
	global_load_b64 v[8:9], v1, s[4:5]
	s_wait_loadcnt 0x1
	v_and_b32_e32 v4, v4, v6
	v_and_b32_e32 v5, v5, v7
	s_delay_alu instid0(VALU_DEP_1) | instskip(SKIP_1) | instid1(VALU_DEP_1)
	v_mul_u64_e32 v[4:5], 24, v[4:5]
	s_wait_loadcnt 0x0
	v_add_nc_u64_e32 v[4:5], v[8:9], v[4:5]
	global_load_b64 v[4:5], v[4:5], off scope:SCOPE_SYS
	s_wait_xcnt 0x0
	s_wait_loadcnt 0x0
	global_atomic_cmpswap_b64 v[4:5], v1, v[4:7], s[4:5] offset:24 th:TH_ATOMIC_RETURN scope:SCOPE_SYS
	s_wait_loadcnt 0x0
	global_inv scope:SCOPE_SYS
	s_wait_xcnt 0x0
	v_cmpx_ne_u64_e64 v[4:5], v[6:7]
	s_cbranch_execz .LBB0_112
; %bb.109:
	s_mov_b32 s7, 0
.LBB0_110:                              ; =>This Inner Loop Header: Depth=1
	s_sleep 1
	s_clause 0x1
	global_load_b64 v[8:9], v1, s[4:5] offset:40
	global_load_b64 v[10:11], v1, s[4:5]
	v_mov_b64_e32 v[6:7], v[4:5]
	s_wait_loadcnt 0x1
	s_delay_alu instid0(VALU_DEP_1) | instskip(NEXT) | instid1(VALU_DEP_2)
	v_and_b32_e32 v4, v8, v6
	v_and_b32_e32 v8, v9, v7
	s_wait_loadcnt 0x0
	s_delay_alu instid0(VALU_DEP_2) | instskip(NEXT) | instid1(VALU_DEP_1)
	v_mad_nc_u64_u32 v[4:5], v4, 24, v[10:11]
	v_mad_u32 v5, v8, 24, v5
	global_load_b64 v[4:5], v[4:5], off scope:SCOPE_SYS
	s_wait_xcnt 0x0
	s_wait_loadcnt 0x0
	global_atomic_cmpswap_b64 v[4:5], v1, v[4:7], s[4:5] offset:24 th:TH_ATOMIC_RETURN scope:SCOPE_SYS
	s_wait_loadcnt 0x0
	global_inv scope:SCOPE_SYS
	v_cmp_eq_u64_e32 vcc_lo, v[4:5], v[6:7]
	s_or_b32 s7, vcc_lo, s7
	s_wait_xcnt 0x0
	s_and_not1_b32 exec_lo, exec_lo, s7
	s_cbranch_execnz .LBB0_110
; %bb.111:
	s_or_b32 exec_lo, exec_lo, s7
.LBB0_112:
	s_delay_alu instid0(SALU_CYCLE_1)
	s_or_b32 exec_lo, exec_lo, s6
.LBB0_113:
	s_delay_alu instid0(SALU_CYCLE_1)
	s_or_b32 exec_lo, exec_lo, s3
	v_readfirstlane_b32 s6, v4
	v_mov_b32_e32 v1, 0
	v_readfirstlane_b32 s7, v5
	s_mov_b32 s3, exec_lo
	s_clause 0x1
	global_load_b64 v[10:11], v1, s[4:5] offset:40
	global_load_b128 v[6:9], v1, s[4:5]
	s_wait_loadcnt 0x1
	v_and_b32_e32 v4, s6, v10
	v_and_b32_e32 v5, s7, v11
	s_delay_alu instid0(VALU_DEP_1) | instskip(SKIP_1) | instid1(VALU_DEP_1)
	v_mul_u64_e32 v[10:11], 24, v[4:5]
	s_wait_loadcnt 0x0
	v_add_nc_u64_e32 v[10:11], v[6:7], v[10:11]
	s_wait_xcnt 0x0
	s_and_saveexec_b32 s10, s2
	s_cbranch_execz .LBB0_115
; %bb.114:
	v_mov_b64_e32 v[14:15], 0x100000002
	v_dual_mov_b32 v12, s3 :: v_dual_mov_b32 v13, v1
	global_store_b128 v[10:11], v[12:15], off offset:8
.LBB0_115:
	s_wait_xcnt 0x0
	s_or_b32 exec_lo, exec_lo, s10
	v_lshlrev_b64_e32 v[4:5], 12, v[4:5]
	s_mov_b32 s12, 0
	v_and_or_b32 v2, 0xffffff1f, v2, 32
	s_mov_b32 s13, s12
	s_mov_b32 s14, s12
	;; [unrolled: 1-line block ×3, first 2 shown]
	v_mov_b64_e32 v[12:13], s[12:13]
	v_add_nc_u64_e32 v[8:9], v[8:9], v[4:5]
	v_mov_b64_e32 v[14:15], s[14:15]
	v_dual_mov_b32 v4, v1 :: v_dual_mov_b32 v5, v1
	s_delay_alu instid0(VALU_DEP_3) | instskip(NEXT) | instid1(VALU_DEP_4)
	v_readfirstlane_b32 s10, v8
	v_readfirstlane_b32 s11, v9
	s_clause 0x3
	global_store_b128 v0, v[2:5], s[10:11]
	global_store_b128 v0, v[12:15], s[10:11] offset:16
	global_store_b128 v0, v[12:15], s[10:11] offset:32
	global_store_b128 v0, v[12:15], s[10:11] offset:48
	s_wait_xcnt 0x0
	s_and_saveexec_b32 s3, s2
	s_cbranch_execz .LBB0_123
; %bb.116:
	v_dual_mov_b32 v12, 0 :: v_dual_mov_b32 v15, s7
	s_mov_b32 s10, exec_lo
	s_clause 0x1
	global_load_b64 v[16:17], v12, s[4:5] offset:32 scope:SCOPE_SYS
	global_load_b64 v[2:3], v12, s[4:5] offset:40
	s_wait_loadcnt 0x0
	v_dual_mov_b32 v14, s6 :: v_dual_bitop2_b32 v3, s7, v3 bitop3:0x40
	v_and_b32_e32 v2, s6, v2
	s_delay_alu instid0(VALU_DEP_1) | instskip(NEXT) | instid1(VALU_DEP_1)
	v_mul_u64_e32 v[2:3], 24, v[2:3]
	v_add_nc_u64_e32 v[6:7], v[6:7], v[2:3]
	global_store_b64 v[6:7], v[16:17], off
	global_wb scope:SCOPE_SYS
	s_wait_storecnt 0x0
	s_wait_xcnt 0x0
	global_atomic_cmpswap_b64 v[4:5], v12, v[14:17], s[4:5] offset:32 th:TH_ATOMIC_RETURN scope:SCOPE_SYS
	s_wait_loadcnt 0x0
	v_cmpx_ne_u64_e64 v[4:5], v[16:17]
	s_cbranch_execz .LBB0_119
; %bb.117:
	s_mov_b32 s11, 0
.LBB0_118:                              ; =>This Inner Loop Header: Depth=1
	v_dual_mov_b32 v2, s6 :: v_dual_mov_b32 v3, s7
	s_sleep 1
	global_store_b64 v[6:7], v[4:5], off
	global_wb scope:SCOPE_SYS
	s_wait_storecnt 0x0
	s_wait_xcnt 0x0
	global_atomic_cmpswap_b64 v[2:3], v12, v[2:5], s[4:5] offset:32 th:TH_ATOMIC_RETURN scope:SCOPE_SYS
	s_wait_loadcnt 0x0
	v_cmp_eq_u64_e32 vcc_lo, v[2:3], v[4:5]
	v_mov_b64_e32 v[4:5], v[2:3]
	s_or_b32 s11, vcc_lo, s11
	s_delay_alu instid0(SALU_CYCLE_1)
	s_and_not1_b32 exec_lo, exec_lo, s11
	s_cbranch_execnz .LBB0_118
.LBB0_119:
	s_or_b32 exec_lo, exec_lo, s10
	v_mov_b32_e32 v5, 0
	s_mov_b32 s11, exec_lo
	s_mov_b32 s10, exec_lo
	v_mbcnt_lo_u32_b32 v4, s11, 0
	global_load_b64 v[2:3], v5, s[4:5] offset:16
	s_wait_xcnt 0x0
	v_cmpx_eq_u32_e32 0, v4
	s_cbranch_execz .LBB0_121
; %bb.120:
	s_bcnt1_i32_b32 s11, s11
	s_delay_alu instid0(SALU_CYCLE_1)
	v_mov_b32_e32 v4, s11
	global_wb scope:SCOPE_SYS
	s_wait_loadcnt 0x0
	s_wait_storecnt 0x0
	global_atomic_add_u64 v[2:3], v[4:5], off offset:8 scope:SCOPE_SYS
.LBB0_121:
	s_wait_xcnt 0x0
	s_or_b32 exec_lo, exec_lo, s10
	s_wait_loadcnt 0x0
	global_load_b64 v[4:5], v[2:3], off offset:16
	s_wait_loadcnt 0x0
	v_cmp_eq_u64_e32 vcc_lo, 0, v[4:5]
	s_cbranch_vccnz .LBB0_123
; %bb.122:
	global_load_b32 v2, v[2:3], off offset:24
	s_wait_xcnt 0x0
	v_mov_b32_e32 v3, 0
	s_wait_loadcnt 0x0
	v_readfirstlane_b32 s10, v2
	global_wb scope:SCOPE_SYS
	s_wait_storecnt 0x0
	global_store_b64 v[4:5], v[2:3], off scope:SCOPE_SYS
	s_and_b32 m0, s10, 0xffffff
	s_sendmsg sendmsg(MSG_INTERRUPT)
.LBB0_123:
	s_wait_xcnt 0x0
	s_or_b32 exec_lo, exec_lo, s3
	v_add_nc_u64_e32 v[2:3], v[8:9], v[0:1]
	s_branch .LBB0_127
.LBB0_124:                              ;   in Loop: Header=BB0_127 Depth=1
	s_wait_xcnt 0x0
	s_or_b32 exec_lo, exec_lo, s3
	s_delay_alu instid0(VALU_DEP_1)
	v_readfirstlane_b32 s3, v1
	s_cmp_eq_u32 s3, 0
	s_cbranch_scc1 .LBB0_126
; %bb.125:                              ;   in Loop: Header=BB0_127 Depth=1
	s_sleep 1
	s_cbranch_execnz .LBB0_127
	s_branch .LBB0_129
.LBB0_126:
	s_branch .LBB0_129
.LBB0_127:                              ; =>This Inner Loop Header: Depth=1
	v_mov_b32_e32 v1, 1
	s_and_saveexec_b32 s3, s2
	s_cbranch_execz .LBB0_124
; %bb.128:                              ;   in Loop: Header=BB0_127 Depth=1
	global_load_b32 v1, v[10:11], off offset:20 scope:SCOPE_SYS
	s_wait_loadcnt 0x0
	global_inv scope:SCOPE_SYS
	v_and_b32_e32 v1, 1, v1
	s_branch .LBB0_124
.LBB0_129:
	global_load_b64 v[4:5], v[2:3], off
	s_wait_xcnt 0x0
	s_and_saveexec_b32 s10, s2
	s_cbranch_execz .LBB0_133
; %bb.130:
	v_mov_b32_e32 v1, 0
	s_clause 0x2
	global_load_b64 v[2:3], v1, s[4:5] offset:40
	global_load_b64 v[10:11], v1, s[4:5] offset:24 scope:SCOPE_SYS
	global_load_b64 v[6:7], v1, s[4:5]
	s_wait_loadcnt 0x2
	v_readfirstlane_b32 s12, v2
	v_readfirstlane_b32 s13, v3
	s_add_nc_u64 s[2:3], s[12:13], 1
	s_delay_alu instid0(SALU_CYCLE_1) | instskip(NEXT) | instid1(SALU_CYCLE_1)
	s_add_nc_u64 s[6:7], s[2:3], s[6:7]
	s_cmp_eq_u64 s[6:7], 0
	s_cselect_b32 s3, s3, s7
	s_cselect_b32 s2, s2, s6
	v_mov_b32_e32 v9, s3
	s_and_b64 s[6:7], s[2:3], s[12:13]
	v_mov_b32_e32 v8, s2
	s_mul_u64 s[6:7], s[6:7], 24
	s_wait_loadcnt 0x0
	v_add_nc_u64_e32 v[2:3], s[6:7], v[6:7]
	global_store_b64 v[2:3], v[10:11], off
	global_wb scope:SCOPE_SYS
	s_wait_storecnt 0x0
	s_wait_xcnt 0x0
	global_atomic_cmpswap_b64 v[8:9], v1, v[8:11], s[4:5] offset:24 th:TH_ATOMIC_RETURN scope:SCOPE_SYS
	s_wait_loadcnt 0x0
	v_cmp_ne_u64_e32 vcc_lo, v[8:9], v[10:11]
	s_and_b32 exec_lo, exec_lo, vcc_lo
	s_cbranch_execz .LBB0_133
; %bb.131:
	s_mov_b32 s6, 0
.LBB0_132:                              ; =>This Inner Loop Header: Depth=1
	v_dual_mov_b32 v6, s2 :: v_dual_mov_b32 v7, s3
	s_sleep 1
	global_store_b64 v[2:3], v[8:9], off
	global_wb scope:SCOPE_SYS
	s_wait_storecnt 0x0
	s_wait_xcnt 0x0
	global_atomic_cmpswap_b64 v[6:7], v1, v[6:9], s[4:5] offset:24 th:TH_ATOMIC_RETURN scope:SCOPE_SYS
	s_wait_loadcnt 0x0
	v_cmp_eq_u64_e32 vcc_lo, v[6:7], v[8:9]
	v_mov_b64_e32 v[8:9], v[6:7]
	s_or_b32 s6, vcc_lo, s6
	s_delay_alu instid0(SALU_CYCLE_1)
	s_and_not1_b32 exec_lo, exec_lo, s6
	s_cbranch_execnz .LBB0_132
.LBB0_133:
	s_or_b32 exec_lo, exec_lo, s10
.LBB0_134:
	v_readfirstlane_b32 s2, v29
	s_wait_loadcnt 0x0
	v_mov_b64_e32 v[2:3], 0
	s_delay_alu instid0(VALU_DEP_2)
	v_cmp_eq_u32_e64 s2, s2, v29
	s_and_saveexec_b32 s3, s2
	s_cbranch_execz .LBB0_140
; %bb.135:
	v_mov_b32_e32 v1, 0
	s_mov_b32 s6, exec_lo
	global_load_b64 v[8:9], v1, s[4:5] offset:24 scope:SCOPE_SYS
	s_wait_loadcnt 0x0
	global_inv scope:SCOPE_SYS
	s_clause 0x1
	global_load_b64 v[2:3], v1, s[4:5] offset:40
	global_load_b64 v[6:7], v1, s[4:5]
	s_wait_loadcnt 0x1
	v_and_b32_e32 v2, v2, v8
	v_and_b32_e32 v3, v3, v9
	s_delay_alu instid0(VALU_DEP_1) | instskip(SKIP_1) | instid1(VALU_DEP_1)
	v_mul_u64_e32 v[2:3], 24, v[2:3]
	s_wait_loadcnt 0x0
	v_add_nc_u64_e32 v[2:3], v[6:7], v[2:3]
	global_load_b64 v[6:7], v[2:3], off scope:SCOPE_SYS
	s_wait_xcnt 0x0
	s_wait_loadcnt 0x0
	global_atomic_cmpswap_b64 v[2:3], v1, v[6:9], s[4:5] offset:24 th:TH_ATOMIC_RETURN scope:SCOPE_SYS
	s_wait_loadcnt 0x0
	global_inv scope:SCOPE_SYS
	s_wait_xcnt 0x0
	v_cmpx_ne_u64_e64 v[2:3], v[8:9]
	s_cbranch_execz .LBB0_139
; %bb.136:
	s_mov_b32 s7, 0
.LBB0_137:                              ; =>This Inner Loop Header: Depth=1
	s_sleep 1
	s_clause 0x1
	global_load_b64 v[6:7], v1, s[4:5] offset:40
	global_load_b64 v[10:11], v1, s[4:5]
	v_mov_b64_e32 v[8:9], v[2:3]
	s_wait_loadcnt 0x1
	s_delay_alu instid0(VALU_DEP_1) | instskip(NEXT) | instid1(VALU_DEP_2)
	v_and_b32_e32 v2, v6, v8
	v_and_b32_e32 v6, v7, v9
	s_wait_loadcnt 0x0
	s_delay_alu instid0(VALU_DEP_2) | instskip(NEXT) | instid1(VALU_DEP_1)
	v_mad_nc_u64_u32 v[2:3], v2, 24, v[10:11]
	v_mad_u32 v3, v6, 24, v3
	global_load_b64 v[6:7], v[2:3], off scope:SCOPE_SYS
	s_wait_xcnt 0x0
	s_wait_loadcnt 0x0
	global_atomic_cmpswap_b64 v[2:3], v1, v[6:9], s[4:5] offset:24 th:TH_ATOMIC_RETURN scope:SCOPE_SYS
	s_wait_loadcnt 0x0
	global_inv scope:SCOPE_SYS
	v_cmp_eq_u64_e32 vcc_lo, v[2:3], v[8:9]
	s_or_b32 s7, vcc_lo, s7
	s_wait_xcnt 0x0
	s_and_not1_b32 exec_lo, exec_lo, s7
	s_cbranch_execnz .LBB0_137
; %bb.138:
	s_or_b32 exec_lo, exec_lo, s7
.LBB0_139:
	s_delay_alu instid0(SALU_CYCLE_1)
	s_or_b32 exec_lo, exec_lo, s6
.LBB0_140:
	s_delay_alu instid0(SALU_CYCLE_1)
	s_or_b32 exec_lo, exec_lo, s3
	v_readfirstlane_b32 s6, v2
	v_mov_b32_e32 v1, 0
	v_readfirstlane_b32 s7, v3
	s_mov_b32 s3, exec_lo
	s_clause 0x1
	global_load_b64 v[6:7], v1, s[4:5] offset:40
	global_load_b128 v[8:11], v1, s[4:5]
	s_wait_loadcnt 0x1
	v_and_b32_e32 v2, s6, v6
	v_and_b32_e32 v3, s7, v7
	s_delay_alu instid0(VALU_DEP_1) | instskip(SKIP_1) | instid1(VALU_DEP_1)
	v_mul_u64_e32 v[6:7], 24, v[2:3]
	s_wait_loadcnt 0x0
	v_add_nc_u64_e32 v[12:13], v[8:9], v[6:7]
	s_wait_xcnt 0x0
	s_and_saveexec_b32 s10, s2
	s_cbranch_execz .LBB0_142
; %bb.141:
	v_mov_b64_e32 v[16:17], 0x100000002
	v_dual_mov_b32 v14, s3 :: v_dual_mov_b32 v15, v1
	global_store_b128 v[12:13], v[14:17], off offset:8
.LBB0_142:
	s_wait_xcnt 0x0
	s_or_b32 exec_lo, exec_lo, s10
	v_lshlrev_b64_e32 v[2:3], 12, v[2:3]
	s_mul_i32 s3, s19, s20
	s_and_b32 s10, 0xffff, s21
	s_mov_b32 s12, 0
	s_mul_i32 s3, s3, s10
	s_mov_b32 s14, s12
	s_mov_b32 s15, s12
	v_add_nc_u64_e32 v[10:11], v[10:11], v[2:3]
	s_mov_b32 s13, s12
	s_lshr_b32 s3, s3, 1
	v_mov_b64_e32 v[16:17], s[14:15]
	v_mov_b64_e32 v[14:15], s[12:13]
	v_and_or_b32 v4, 0xffffff1f, v4, 32
	v_dual_mov_b32 v7, v1 :: v_dual_mov_b32 v6, s3
	v_readfirstlane_b32 s10, v10
	v_readfirstlane_b32 s11, v11
	s_clause 0x3
	global_store_b128 v0, v[4:7], s[10:11]
	global_store_b128 v0, v[14:17], s[10:11] offset:16
	global_store_b128 v0, v[14:17], s[10:11] offset:32
	;; [unrolled: 1-line block ×3, first 2 shown]
	s_wait_xcnt 0x0
	s_and_saveexec_b32 s3, s2
	s_cbranch_execz .LBB0_150
; %bb.143:
	v_dual_mov_b32 v14, 0 :: v_dual_mov_b32 v17, s7
	s_mov_b32 s10, exec_lo
	s_clause 0x1
	global_load_b64 v[18:19], v14, s[4:5] offset:32 scope:SCOPE_SYS
	global_load_b64 v[2:3], v14, s[4:5] offset:40
	s_wait_loadcnt 0x0
	v_dual_mov_b32 v16, s6 :: v_dual_bitop2_b32 v3, s7, v3 bitop3:0x40
	v_and_b32_e32 v2, s6, v2
	s_delay_alu instid0(VALU_DEP_1) | instskip(NEXT) | instid1(VALU_DEP_1)
	v_mul_u64_e32 v[2:3], 24, v[2:3]
	v_add_nc_u64_e32 v[6:7], v[8:9], v[2:3]
	global_store_b64 v[6:7], v[18:19], off
	global_wb scope:SCOPE_SYS
	s_wait_storecnt 0x0
	s_wait_xcnt 0x0
	global_atomic_cmpswap_b64 v[4:5], v14, v[16:19], s[4:5] offset:32 th:TH_ATOMIC_RETURN scope:SCOPE_SYS
	s_wait_loadcnt 0x0
	v_cmpx_ne_u64_e64 v[4:5], v[18:19]
	s_cbranch_execz .LBB0_146
; %bb.144:
	s_mov_b32 s11, 0
.LBB0_145:                              ; =>This Inner Loop Header: Depth=1
	v_dual_mov_b32 v2, s6 :: v_dual_mov_b32 v3, s7
	s_sleep 1
	global_store_b64 v[6:7], v[4:5], off
	global_wb scope:SCOPE_SYS
	s_wait_storecnt 0x0
	s_wait_xcnt 0x0
	global_atomic_cmpswap_b64 v[2:3], v14, v[2:5], s[4:5] offset:32 th:TH_ATOMIC_RETURN scope:SCOPE_SYS
	s_wait_loadcnt 0x0
	v_cmp_eq_u64_e32 vcc_lo, v[2:3], v[4:5]
	v_mov_b64_e32 v[4:5], v[2:3]
	s_or_b32 s11, vcc_lo, s11
	s_delay_alu instid0(SALU_CYCLE_1)
	s_and_not1_b32 exec_lo, exec_lo, s11
	s_cbranch_execnz .LBB0_145
.LBB0_146:
	s_or_b32 exec_lo, exec_lo, s10
	v_mov_b32_e32 v5, 0
	s_mov_b32 s11, exec_lo
	s_mov_b32 s10, exec_lo
	v_mbcnt_lo_u32_b32 v4, s11, 0
	global_load_b64 v[2:3], v5, s[4:5] offset:16
	s_wait_xcnt 0x0
	v_cmpx_eq_u32_e32 0, v4
	s_cbranch_execz .LBB0_148
; %bb.147:
	s_bcnt1_i32_b32 s11, s11
	s_delay_alu instid0(SALU_CYCLE_1)
	v_mov_b32_e32 v4, s11
	global_wb scope:SCOPE_SYS
	s_wait_loadcnt 0x0
	s_wait_storecnt 0x0
	global_atomic_add_u64 v[2:3], v[4:5], off offset:8 scope:SCOPE_SYS
.LBB0_148:
	s_wait_xcnt 0x0
	s_or_b32 exec_lo, exec_lo, s10
	s_wait_loadcnt 0x0
	global_load_b64 v[4:5], v[2:3], off offset:16
	s_wait_loadcnt 0x0
	v_cmp_eq_u64_e32 vcc_lo, 0, v[4:5]
	s_cbranch_vccnz .LBB0_150
; %bb.149:
	global_load_b32 v2, v[2:3], off offset:24
	s_wait_xcnt 0x0
	v_mov_b32_e32 v3, 0
	s_wait_loadcnt 0x0
	v_readfirstlane_b32 s10, v2
	global_wb scope:SCOPE_SYS
	s_wait_storecnt 0x0
	global_store_b64 v[4:5], v[2:3], off scope:SCOPE_SYS
	s_and_b32 m0, s10, 0xffffff
	s_sendmsg sendmsg(MSG_INTERRUPT)
.LBB0_150:
	s_wait_xcnt 0x0
	s_or_b32 exec_lo, exec_lo, s3
	v_add_nc_u64_e32 v[2:3], v[10:11], v[0:1]
	s_branch .LBB0_154
.LBB0_151:                              ;   in Loop: Header=BB0_154 Depth=1
	s_wait_xcnt 0x0
	s_or_b32 exec_lo, exec_lo, s3
	s_delay_alu instid0(VALU_DEP_1)
	v_readfirstlane_b32 s3, v1
	s_cmp_eq_u32 s3, 0
	s_cbranch_scc1 .LBB0_153
; %bb.152:                              ;   in Loop: Header=BB0_154 Depth=1
	s_sleep 1
	s_cbranch_execnz .LBB0_154
	s_branch .LBB0_156
.LBB0_153:
	s_branch .LBB0_156
.LBB0_154:                              ; =>This Inner Loop Header: Depth=1
	v_mov_b32_e32 v1, 1
	s_and_saveexec_b32 s3, s2
	s_cbranch_execz .LBB0_151
; %bb.155:                              ;   in Loop: Header=BB0_154 Depth=1
	global_load_b32 v1, v[12:13], off offset:20 scope:SCOPE_SYS
	s_wait_loadcnt 0x0
	global_inv scope:SCOPE_SYS
	v_and_b32_e32 v1, 1, v1
	s_branch .LBB0_151
.LBB0_156:
	global_load_b64 v[2:3], v[2:3], off
	s_wait_xcnt 0x0
	s_and_saveexec_b32 s10, s2
	s_cbranch_execz .LBB0_160
; %bb.157:
	v_mov_b32_e32 v1, 0
	s_clause 0x2
	global_load_b64 v[4:5], v1, s[4:5] offset:40
	global_load_b64 v[12:13], v1, s[4:5] offset:24 scope:SCOPE_SYS
	global_load_b64 v[6:7], v1, s[4:5]
	s_wait_loadcnt 0x2
	v_readfirstlane_b32 s12, v4
	v_readfirstlane_b32 s13, v5
	s_add_nc_u64 s[2:3], s[12:13], 1
	s_delay_alu instid0(SALU_CYCLE_1) | instskip(NEXT) | instid1(SALU_CYCLE_1)
	s_add_nc_u64 s[6:7], s[2:3], s[6:7]
	s_cmp_eq_u64 s[6:7], 0
	s_cselect_b32 s3, s3, s7
	s_cselect_b32 s2, s2, s6
	v_mov_b32_e32 v11, s3
	s_and_b64 s[6:7], s[2:3], s[12:13]
	v_mov_b32_e32 v10, s2
	s_mul_u64 s[6:7], s[6:7], 24
	s_wait_loadcnt 0x0
	v_add_nc_u64_e32 v[8:9], s[6:7], v[6:7]
	global_store_b64 v[8:9], v[12:13], off
	global_wb scope:SCOPE_SYS
	s_wait_storecnt 0x0
	s_wait_xcnt 0x0
	global_atomic_cmpswap_b64 v[6:7], v1, v[10:13], s[4:5] offset:24 th:TH_ATOMIC_RETURN scope:SCOPE_SYS
	s_wait_loadcnt 0x0
	v_cmp_ne_u64_e32 vcc_lo, v[6:7], v[12:13]
	s_and_b32 exec_lo, exec_lo, vcc_lo
	s_cbranch_execz .LBB0_160
; %bb.158:
	s_mov_b32 s6, 0
.LBB0_159:                              ; =>This Inner Loop Header: Depth=1
	v_dual_mov_b32 v4, s2 :: v_dual_mov_b32 v5, s3
	s_sleep 1
	global_store_b64 v[8:9], v[6:7], off
	global_wb scope:SCOPE_SYS
	s_wait_storecnt 0x0
	s_wait_xcnt 0x0
	global_atomic_cmpswap_b64 v[4:5], v1, v[4:7], s[4:5] offset:24 th:TH_ATOMIC_RETURN scope:SCOPE_SYS
	s_wait_loadcnt 0x0
	v_cmp_eq_u64_e32 vcc_lo, v[4:5], v[6:7]
	v_mov_b64_e32 v[6:7], v[4:5]
	s_or_b32 s6, vcc_lo, s6
	s_delay_alu instid0(SALU_CYCLE_1)
	s_and_not1_b32 exec_lo, exec_lo, s6
	s_cbranch_execnz .LBB0_159
.LBB0_160:
	s_or_b32 exec_lo, exec_lo, s10
	v_readfirstlane_b32 s2, v29
	v_mov_b64_e32 v[10:11], 0
	s_delay_alu instid0(VALU_DEP_2)
	v_cmp_eq_u32_e64 s2, s2, v29
	s_and_saveexec_b32 s3, s2
	s_cbranch_execz .LBB0_166
; %bb.161:
	v_mov_b32_e32 v1, 0
	s_mov_b32 s6, exec_lo
	global_load_b64 v[6:7], v1, s[4:5] offset:24 scope:SCOPE_SYS
	s_wait_loadcnt 0x0
	global_inv scope:SCOPE_SYS
	s_clause 0x1
	global_load_b64 v[4:5], v1, s[4:5] offset:40
	global_load_b64 v[8:9], v1, s[4:5]
	s_wait_loadcnt 0x1
	v_and_b32_e32 v4, v4, v6
	v_and_b32_e32 v5, v5, v7
	s_delay_alu instid0(VALU_DEP_1) | instskip(SKIP_1) | instid1(VALU_DEP_1)
	v_mul_u64_e32 v[4:5], 24, v[4:5]
	s_wait_loadcnt 0x0
	v_add_nc_u64_e32 v[4:5], v[8:9], v[4:5]
	global_load_b64 v[4:5], v[4:5], off scope:SCOPE_SYS
	s_wait_xcnt 0x0
	s_wait_loadcnt 0x0
	global_atomic_cmpswap_b64 v[10:11], v1, v[4:7], s[4:5] offset:24 th:TH_ATOMIC_RETURN scope:SCOPE_SYS
	s_wait_loadcnt 0x0
	global_inv scope:SCOPE_SYS
	s_wait_xcnt 0x0
	v_cmpx_ne_u64_e64 v[10:11], v[6:7]
	s_cbranch_execz .LBB0_165
; %bb.162:
	s_mov_b32 s7, 0
.LBB0_163:                              ; =>This Inner Loop Header: Depth=1
	s_sleep 1
	s_clause 0x1
	global_load_b64 v[4:5], v1, s[4:5] offset:40
	global_load_b64 v[8:9], v1, s[4:5]
	v_mov_b64_e32 v[6:7], v[10:11]
	s_wait_loadcnt 0x1
	s_delay_alu instid0(VALU_DEP_1) | instskip(SKIP_1) | instid1(VALU_DEP_1)
	v_and_b32_e32 v4, v4, v6
	s_wait_loadcnt 0x0
	v_mad_nc_u64_u32 v[8:9], v4, 24, v[8:9]
	s_delay_alu instid0(VALU_DEP_3) | instskip(NEXT) | instid1(VALU_DEP_1)
	v_and_b32_e32 v4, v5, v7
	v_mad_u32 v9, v4, 24, v9
	global_load_b64 v[4:5], v[8:9], off scope:SCOPE_SYS
	s_wait_xcnt 0x0
	s_wait_loadcnt 0x0
	global_atomic_cmpswap_b64 v[10:11], v1, v[4:7], s[4:5] offset:24 th:TH_ATOMIC_RETURN scope:SCOPE_SYS
	s_wait_loadcnt 0x0
	global_inv scope:SCOPE_SYS
	v_cmp_eq_u64_e32 vcc_lo, v[10:11], v[6:7]
	s_or_b32 s7, vcc_lo, s7
	s_wait_xcnt 0x0
	s_and_not1_b32 exec_lo, exec_lo, s7
	s_cbranch_execnz .LBB0_163
; %bb.164:
	s_or_b32 exec_lo, exec_lo, s7
.LBB0_165:
	s_delay_alu instid0(SALU_CYCLE_1)
	s_or_b32 exec_lo, exec_lo, s6
.LBB0_166:
	s_delay_alu instid0(SALU_CYCLE_1)
	s_or_b32 exec_lo, exec_lo, s3
	v_readfirstlane_b32 s6, v10
	v_mov_b32_e32 v5, 0
	v_readfirstlane_b32 s7, v11
	s_mov_b32 s3, exec_lo
	s_clause 0x1
	global_load_b64 v[12:13], v5, s[4:5] offset:40
	global_load_b128 v[6:9], v5, s[4:5]
	s_wait_loadcnt 0x1
	v_and_b32_e32 v12, s6, v12
	v_and_b32_e32 v13, s7, v13
	s_delay_alu instid0(VALU_DEP_1) | instskip(SKIP_1) | instid1(VALU_DEP_1)
	v_mul_u64_e32 v[10:11], 24, v[12:13]
	s_wait_loadcnt 0x0
	v_add_nc_u64_e32 v[10:11], v[6:7], v[10:11]
	s_wait_xcnt 0x0
	s_and_saveexec_b32 s10, s2
	s_cbranch_execz .LBB0_168
; %bb.167:
	v_mov_b32_e32 v4, s3
	v_mov_b64_e32 v[16:17], 0x100000002
	s_delay_alu instid0(VALU_DEP_2)
	v_mov_b64_e32 v[14:15], v[4:5]
	global_store_b128 v[10:11], v[14:17], off offset:8
.LBB0_168:
	s_wait_xcnt 0x0
	s_or_b32 exec_lo, exec_lo, s10
	v_lshlrev_b64_e32 v[12:13], 12, v[12:13]
	s_mov_b32 s12, 0
	v_and_or_b32 v2, 0xffffff1d, v2, 34
	s_mov_b32 s13, s12
	s_mov_b32 s14, s12
	;; [unrolled: 1-line block ×3, first 2 shown]
	v_mov_b32_e32 v4, 2
	v_add_nc_u64_e32 v[8:9], v[8:9], v[12:13]
	v_mov_b64_e32 v[12:13], s[12:13]
	v_mov_b64_e32 v[14:15], s[14:15]
	s_delay_alu instid0(VALU_DEP_3) | instskip(NEXT) | instid1(VALU_DEP_4)
	v_readfirstlane_b32 s10, v8
	v_readfirstlane_b32 s11, v9
	s_clause 0x3
	global_store_b128 v0, v[2:5], s[10:11]
	global_store_b128 v0, v[12:15], s[10:11] offset:16
	global_store_b128 v0, v[12:15], s[10:11] offset:32
	;; [unrolled: 1-line block ×3, first 2 shown]
	s_wait_xcnt 0x0
	s_and_saveexec_b32 s3, s2
	s_cbranch_execz .LBB0_176
; %bb.169:
	v_dual_mov_b32 v8, 0 :: v_dual_mov_b32 v13, s7
	s_mov_b32 s10, exec_lo
	s_clause 0x1
	global_load_b64 v[14:15], v8, s[4:5] offset:32 scope:SCOPE_SYS
	global_load_b64 v[0:1], v8, s[4:5] offset:40
	s_wait_loadcnt 0x0
	v_dual_mov_b32 v12, s6 :: v_dual_bitop2_b32 v1, s7, v1 bitop3:0x40
	v_and_b32_e32 v0, s6, v0
	s_delay_alu instid0(VALU_DEP_1) | instskip(NEXT) | instid1(VALU_DEP_1)
	v_mul_u64_e32 v[0:1], 24, v[0:1]
	v_add_nc_u64_e32 v[4:5], v[6:7], v[0:1]
	global_store_b64 v[4:5], v[14:15], off
	global_wb scope:SCOPE_SYS
	s_wait_storecnt 0x0
	s_wait_xcnt 0x0
	global_atomic_cmpswap_b64 v[2:3], v8, v[12:15], s[4:5] offset:32 th:TH_ATOMIC_RETURN scope:SCOPE_SYS
	s_wait_loadcnt 0x0
	v_cmpx_ne_u64_e64 v[2:3], v[14:15]
	s_cbranch_execz .LBB0_172
; %bb.170:
	s_mov_b32 s11, 0
.LBB0_171:                              ; =>This Inner Loop Header: Depth=1
	v_dual_mov_b32 v0, s6 :: v_dual_mov_b32 v1, s7
	s_sleep 1
	global_store_b64 v[4:5], v[2:3], off
	global_wb scope:SCOPE_SYS
	s_wait_storecnt 0x0
	s_wait_xcnt 0x0
	global_atomic_cmpswap_b64 v[0:1], v8, v[0:3], s[4:5] offset:32 th:TH_ATOMIC_RETURN scope:SCOPE_SYS
	s_wait_loadcnt 0x0
	v_cmp_eq_u64_e32 vcc_lo, v[0:1], v[2:3]
	v_mov_b64_e32 v[2:3], v[0:1]
	s_or_b32 s11, vcc_lo, s11
	s_delay_alu instid0(SALU_CYCLE_1)
	s_and_not1_b32 exec_lo, exec_lo, s11
	s_cbranch_execnz .LBB0_171
.LBB0_172:
	s_or_b32 exec_lo, exec_lo, s10
	v_mov_b32_e32 v3, 0
	s_mov_b32 s11, exec_lo
	s_mov_b32 s10, exec_lo
	v_mbcnt_lo_u32_b32 v2, s11, 0
	global_load_b64 v[0:1], v3, s[4:5] offset:16
	s_wait_xcnt 0x0
	v_cmpx_eq_u32_e32 0, v2
	s_cbranch_execz .LBB0_174
; %bb.173:
	s_bcnt1_i32_b32 s11, s11
	s_delay_alu instid0(SALU_CYCLE_1)
	v_mov_b32_e32 v2, s11
	global_wb scope:SCOPE_SYS
	s_wait_loadcnt 0x0
	s_wait_storecnt 0x0
	global_atomic_add_u64 v[0:1], v[2:3], off offset:8 scope:SCOPE_SYS
.LBB0_174:
	s_wait_xcnt 0x0
	s_or_b32 exec_lo, exec_lo, s10
	s_wait_loadcnt 0x0
	global_load_b64 v[2:3], v[0:1], off offset:16
	s_wait_loadcnt 0x0
	v_cmp_eq_u64_e32 vcc_lo, 0, v[2:3]
	s_cbranch_vccnz .LBB0_176
; %bb.175:
	global_load_b32 v0, v[0:1], off offset:24
	s_wait_xcnt 0x0
	v_mov_b32_e32 v1, 0
	s_wait_loadcnt 0x0
	v_readfirstlane_b32 s10, v0
	global_wb scope:SCOPE_SYS
	s_wait_storecnt 0x0
	global_store_b64 v[2:3], v[0:1], off scope:SCOPE_SYS
	s_and_b32 m0, s10, 0xffffff
	s_sendmsg sendmsg(MSG_INTERRUPT)
.LBB0_176:
	s_wait_xcnt 0x0
	s_or_b32 exec_lo, exec_lo, s3
	s_branch .LBB0_180
.LBB0_177:                              ;   in Loop: Header=BB0_180 Depth=1
	s_wait_xcnt 0x0
	s_or_b32 exec_lo, exec_lo, s3
	s_delay_alu instid0(VALU_DEP_1)
	v_readfirstlane_b32 s3, v0
	s_cmp_eq_u32 s3, 0
	s_cbranch_scc1 .LBB0_179
; %bb.178:                              ;   in Loop: Header=BB0_180 Depth=1
	s_sleep 1
	s_cbranch_execnz .LBB0_180
	s_branch .LBB0_182
.LBB0_179:
	s_branch .LBB0_182
.LBB0_180:                              ; =>This Inner Loop Header: Depth=1
	v_mov_b32_e32 v0, 1
	s_and_saveexec_b32 s3, s2
	s_cbranch_execz .LBB0_177
; %bb.181:                              ;   in Loop: Header=BB0_180 Depth=1
	global_load_b32 v0, v[10:11], off offset:20 scope:SCOPE_SYS
	s_wait_loadcnt 0x0
	global_inv scope:SCOPE_SYS
	v_and_b32_e32 v0, 1, v0
	s_branch .LBB0_177
.LBB0_182:
	s_and_b32 exec_lo, exec_lo, s2
	s_cbranch_execz .LBB0_186
; %bb.183:
	v_mov_b32_e32 v6, 0
	s_clause 0x2
	global_load_b64 v[0:1], v6, s[4:5] offset:40
	global_load_b64 v[10:11], v6, s[4:5] offset:24 scope:SCOPE_SYS
	global_load_b64 v[2:3], v6, s[4:5]
	s_wait_loadcnt 0x2
	v_readfirstlane_b32 s10, v0
	v_readfirstlane_b32 s11, v1
	s_add_nc_u64 s[2:3], s[10:11], 1
	s_delay_alu instid0(SALU_CYCLE_1) | instskip(NEXT) | instid1(SALU_CYCLE_1)
	s_add_nc_u64 s[6:7], s[2:3], s[6:7]
	s_cmp_eq_u64 s[6:7], 0
	s_cselect_b32 s3, s3, s7
	s_cselect_b32 s2, s2, s6
	v_mov_b32_e32 v9, s3
	s_and_b64 s[6:7], s[2:3], s[10:11]
	v_mov_b32_e32 v8, s2
	s_mul_u64 s[6:7], s[6:7], 24
	s_wait_loadcnt 0x0
	v_add_nc_u64_e32 v[4:5], s[6:7], v[2:3]
	global_store_b64 v[4:5], v[10:11], off
	global_wb scope:SCOPE_SYS
	s_wait_storecnt 0x0
	s_wait_xcnt 0x0
	global_atomic_cmpswap_b64 v[2:3], v6, v[8:11], s[4:5] offset:24 th:TH_ATOMIC_RETURN scope:SCOPE_SYS
	s_wait_loadcnt 0x0
	v_cmp_ne_u64_e32 vcc_lo, v[2:3], v[10:11]
	s_and_b32 exec_lo, exec_lo, vcc_lo
	s_cbranch_execz .LBB0_186
; %bb.184:
	s_mov_b32 s6, 0
.LBB0_185:                              ; =>This Inner Loop Header: Depth=1
	v_dual_mov_b32 v0, s2 :: v_dual_mov_b32 v1, s3
	s_sleep 1
	global_store_b64 v[4:5], v[2:3], off
	global_wb scope:SCOPE_SYS
	s_wait_storecnt 0x0
	s_wait_xcnt 0x0
	global_atomic_cmpswap_b64 v[0:1], v6, v[0:3], s[4:5] offset:24 th:TH_ATOMIC_RETURN scope:SCOPE_SYS
	s_wait_loadcnt 0x0
	v_cmp_eq_u64_e32 vcc_lo, v[0:1], v[2:3]
	v_mov_b64_e32 v[2:3], v[0:1]
	s_or_b32 s6, vcc_lo, s6
	s_delay_alu instid0(SALU_CYCLE_1)
	s_and_not1_b32 exec_lo, exec_lo, s6
	s_cbranch_execnz .LBB0_185
.LBB0_186:
	s_or_b32 exec_lo, exec_lo, s18
	s_load_b96 s[4:6], s[0:1], 0x0
	v_and_b32_e32 v3, 1, v36
	s_wait_loadcnt 0x0
	s_wait_storecnt 0x0
	s_barrier_signal -1
	s_barrier_wait -1
	s_wait_kmcnt 0x0
	s_cmp_lt_i32 s6, 1
	s_cbranch_scc1 .LBB0_192
; %bb.187:
	s_cmp_lt_i32 s6, 2
	s_cbranch_scc1 .LBB0_193
; %bb.188:
	s_cmp_eq_u32 s6, 2
                                        ; implicit-def: $vgpr2
	s_cbranch_scc0 .LBB0_388
; %bb.189:
	v_mbcnt_lo_u32_b32 v2, -1, 0
	s_mov_b32 s0, exec_lo
	s_delay_alu instid0(VALU_DEP_1) | instskip(SKIP_1) | instid1(VALU_DEP_2)
	v_dual_mov_b32 v0, 0 :: v_dual_lshlrev_b32 v1, 20, v2
	v_dual_add_nc_u32 v5, -1, v2 :: v_dual_bitop2_b32 v6, 30, v2 bitop3:0x40
	v_add_nc_u64_e32 v[0:1], src_flat_scratch_base_lo, v[0:1]
	s_delay_alu instid0(VALU_DEP_2)
	v_cmp_lt_i32_e32 vcc_lo, v5, v6
	v_cndmask_b32_e32 v2, v5, v2, vcc_lo
	flat_store_b32 v[0:1], v3 scope:SCOPE_SYS
	s_wait_storecnt 0x0
	flat_load_b32 v4, v[0:1] scope:SCOPE_SYS
	s_wait_loadcnt 0x0
	v_lshlrev_b32_e32 v2, 2, v2
	s_wait_dscnt 0x0
	ds_bpermute_b32 v2, v2, v4
	s_wait_xcnt 0x0
	v_cmpx_ne_u32_e32 0, v3
	s_cbranch_execz .LBB0_191
; %bb.190:
	flat_load_b32 v4, v[0:1] scope:SCOPE_SYS
	s_wait_loadcnt_dscnt 0x0
	v_add_nc_u32_e32 v2, v4, v2
	flat_store_b32 v[0:1], v2 scope:SCOPE_SYS
	s_wait_storecnt 0x0
.LBB0_191:
	s_wait_xcnt 0x0
	s_or_b32 exec_lo, exec_lo, s0
	s_wait_dscnt 0x0
	flat_load_b32 v2, v[0:1] scope:SCOPE_SYS
	s_wait_loadcnt 0x0
	s_wait_dscnt 0x0
	global_store_b32 v36, v2, s[4:5] scale_offset
	s_cbranch_execz .LBB0_194
	s_branch .LBB0_195
.LBB0_192:
                                        ; implicit-def: $vgpr2
	s_branch .LBB0_196
.LBB0_193:
                                        ; implicit-def: $vgpr2
.LBB0_194:
	s_wait_xcnt 0x1
	v_mbcnt_lo_u32_b32 v0, -1, 0
	s_wait_xcnt 0x0
	s_delay_alu instid0(VALU_DEP_1) | instskip(SKIP_1) | instid1(VALU_DEP_1)
	v_xor_b32_e32 v2, 1, v0
	v_and_b32_e32 v1, 30, v0
	v_add_nc_u32_e32 v1, 2, v1
	s_delay_alu instid0(VALU_DEP_1) | instskip(SKIP_2) | instid1(VALU_DEP_2)
	v_cmp_lt_i32_e32 vcc_lo, v2, v1
	v_cndmask_b32_e32 v0, v0, v2, vcc_lo
	v_cmp_eq_u32_e32 vcc_lo, 0, v3
	v_lshlrev_b32_e32 v0, 2, v0
	ds_bpermute_b32 v0, v0, v3
	s_wait_dscnt 0x0
	v_cndmask_b32_e32 v2, -1, v0, vcc_lo
.LBB0_195:
	s_cbranch_execnz .LBB0_200
.LBB0_196:
	s_cmp_lg_u32 s6, 0
                                        ; implicit-def: $vgpr2
	s_cbranch_scc1 .LBB0_200
; %bb.197:
	s_wait_xcnt 0x0
	v_mbcnt_lo_u32_b32 v2, -1, 0
	s_mov_b32 s0, exec_lo
	s_delay_alu instid0(VALU_DEP_1) | instskip(SKIP_1) | instid1(VALU_DEP_2)
	v_dual_mov_b32 v0, 4 :: v_dual_lshlrev_b32 v1, 20, v2
	v_lshl_or_b32 v2, v2, 2, 4
	v_add_nc_u64_e32 v[0:1], src_flat_scratch_base_lo, v[0:1]
	flat_store_b32 v[0:1], v3 scope:SCOPE_SYS
	s_wait_storecnt 0x0
	flat_load_b32 v4, v[0:1] scope:SCOPE_SYS
	s_wait_loadcnt 0x0
	flat_load_b32 v5, v[0:1] scope:SCOPE_SYS
	s_wait_loadcnt_dscnt 0x1
	ds_bpermute_b32 v4, v2, v4
	s_wait_dscnt 0x0
	v_dual_mov_b32 v2, -1 :: v_dual_add_nc_u32 v4, v5, v4
	flat_store_b32 v[0:1], v4 scope:SCOPE_SYS
	s_wait_storecnt 0x0
	s_wait_xcnt 0x0
	v_cmpx_eq_u32_e32 0, v3
	s_cbranch_execz .LBB0_199
; %bb.198:
	flat_load_b32 v2, v[0:1] scope:SCOPE_SYS
	s_wait_loadcnt 0x0
.LBB0_199:
	s_wait_xcnt 0x0
	s_or_b32 exec_lo, exec_lo, s0
.LBB0_200:
	v_cmp_eq_u32_e32 vcc_lo, 0, v3
	s_cmp_lg_u32 s6, 2
	s_cselect_b32 s0, -1, 0
	s_delay_alu instid0(SALU_CYCLE_1)
	s_and_b32 s0, s0, vcc_lo
	s_wait_xcnt 0x0
	s_and_saveexec_b32 s1, s0
	s_cbranch_execz .LBB0_387
; %bb.201:
	s_load_b64 s[2:3], s[8:9], 0x50
	v_mbcnt_lo_u32_b32 v3, -1, 0
	v_mov_b64_e32 v[0:1], 0
	s_delay_alu instid0(VALU_DEP_2) | instskip(NEXT) | instid1(VALU_DEP_1)
	v_readfirstlane_b32 s0, v3
	v_cmp_eq_u32_e64 s0, s0, v3
	s_and_saveexec_b32 s1, s0
	s_cbranch_execz .LBB0_207
; %bb.202:
	v_mov_b32_e32 v4, 0
	s_mov_b32 s6, exec_lo
	s_wait_kmcnt 0x0
	global_load_b64 v[8:9], v4, s[2:3] offset:24 scope:SCOPE_SYS
	s_wait_loadcnt 0x0
	global_inv scope:SCOPE_SYS
	s_clause 0x1
	global_load_b64 v[0:1], v4, s[2:3] offset:40
	global_load_b64 v[6:7], v4, s[2:3]
	s_wait_loadcnt 0x1
	v_and_b32_e32 v0, v0, v8
	v_and_b32_e32 v1, v1, v9
	s_delay_alu instid0(VALU_DEP_1) | instskip(SKIP_1) | instid1(VALU_DEP_1)
	v_mul_u64_e32 v[0:1], 24, v[0:1]
	s_wait_loadcnt 0x0
	v_add_nc_u64_e32 v[0:1], v[6:7], v[0:1]
	global_load_b64 v[6:7], v[0:1], off scope:SCOPE_SYS
	s_wait_xcnt 0x0
	s_wait_loadcnt 0x0
	global_atomic_cmpswap_b64 v[0:1], v4, v[6:9], s[2:3] offset:24 th:TH_ATOMIC_RETURN scope:SCOPE_SYS
	s_wait_loadcnt 0x0
	global_inv scope:SCOPE_SYS
	s_wait_xcnt 0x0
	v_cmpx_ne_u64_e64 v[0:1], v[8:9]
	s_cbranch_execz .LBB0_206
; %bb.203:
	s_mov_b32 s7, 0
.LBB0_204:                              ; =>This Inner Loop Header: Depth=1
	s_sleep 1
	s_clause 0x1
	global_load_b64 v[6:7], v4, s[2:3] offset:40
	global_load_b64 v[10:11], v4, s[2:3]
	v_mov_b64_e32 v[8:9], v[0:1]
	s_wait_loadcnt 0x1
	s_delay_alu instid0(VALU_DEP_1) | instskip(NEXT) | instid1(VALU_DEP_2)
	v_and_b32_e32 v0, v6, v8
	v_and_b32_e32 v5, v7, v9
	s_wait_loadcnt 0x0
	s_delay_alu instid0(VALU_DEP_2) | instskip(NEXT) | instid1(VALU_DEP_1)
	v_mad_nc_u64_u32 v[0:1], v0, 24, v[10:11]
	v_mad_u32 v1, v5, 24, v1
	global_load_b64 v[6:7], v[0:1], off scope:SCOPE_SYS
	s_wait_xcnt 0x0
	s_wait_loadcnt 0x0
	global_atomic_cmpswap_b64 v[0:1], v4, v[6:9], s[2:3] offset:24 th:TH_ATOMIC_RETURN scope:SCOPE_SYS
	s_wait_loadcnt 0x0
	global_inv scope:SCOPE_SYS
	v_cmp_eq_u64_e32 vcc_lo, v[0:1], v[8:9]
	s_or_b32 s7, vcc_lo, s7
	s_wait_xcnt 0x0
	s_and_not1_b32 exec_lo, exec_lo, s7
	s_cbranch_execnz .LBB0_204
; %bb.205:
	s_or_b32 exec_lo, exec_lo, s7
.LBB0_206:
	s_delay_alu instid0(SALU_CYCLE_1)
	s_or_b32 exec_lo, exec_lo, s6
.LBB0_207:
	s_delay_alu instid0(SALU_CYCLE_1)
	s_or_b32 exec_lo, exec_lo, s1
	v_readfirstlane_b32 s6, v0
	v_mov_b32_e32 v5, 0
	v_readfirstlane_b32 s7, v1
	s_mov_b32 s1, exec_lo
	s_wait_kmcnt 0x0
	s_clause 0x1
	global_load_b64 v[6:7], v5, s[2:3] offset:40
	global_load_b128 v[8:11], v5, s[2:3]
	s_wait_loadcnt 0x1
	v_and_b32_e32 v12, s6, v6
	v_and_b32_e32 v13, s7, v7
	s_delay_alu instid0(VALU_DEP_1) | instskip(SKIP_1) | instid1(VALU_DEP_1)
	v_mul_u64_e32 v[0:1], 24, v[12:13]
	s_wait_loadcnt 0x0
	v_add_nc_u64_e32 v[0:1], v[8:9], v[0:1]
	s_wait_xcnt 0x0
	s_and_saveexec_b32 s8, s0
	s_cbranch_execz .LBB0_209
; %bb.208:
	v_mov_b64_e32 v[6:7], 0x100000002
	v_mov_b32_e32 v4, s1
	global_store_b128 v[0:1], v[4:7], off offset:8
.LBB0_209:
	s_wait_xcnt 0x0
	s_or_b32 exec_lo, exec_lo, s8
	v_lshlrev_b64_e32 v[6:7], 12, v[12:13]
	s_mov_b32 s8, 0
	v_dual_lshlrev_b32 v4, 6, v3 :: v_dual_mov_b32 v12, 33
	s_mov_b32 s10, s8
	s_mov_b32 s11, s8
	;; [unrolled: 1-line block ×3, first 2 shown]
	s_delay_alu instid0(VALU_DEP_2)
	v_add_nc_u64_e32 v[10:11], v[10:11], v[6:7]
	v_mov_b64_e32 v[18:19], s[10:11]
	v_mov_b64_e32 v[16:17], s[8:9]
	v_dual_mov_b32 v13, v5 :: v_dual_mov_b32 v14, v5
	v_mov_b32_e32 v15, v5
	v_readfirstlane_b32 s12, v10
	v_readfirstlane_b32 s13, v11
	s_clause 0x3
	global_store_b128 v4, v[12:15], s[12:13]
	global_store_b128 v4, v[16:19], s[12:13] offset:16
	global_store_b128 v4, v[16:19], s[12:13] offset:32
	;; [unrolled: 1-line block ×3, first 2 shown]
	s_wait_xcnt 0x0
	s_and_saveexec_b32 s1, s0
	s_cbranch_execz .LBB0_217
; %bb.210:
	v_dual_mov_b32 v14, 0 :: v_dual_mov_b32 v17, s7
	s_mov_b32 s8, exec_lo
	s_clause 0x1
	global_load_b64 v[18:19], v14, s[2:3] offset:32 scope:SCOPE_SYS
	global_load_b64 v[6:7], v14, s[2:3] offset:40
	s_wait_loadcnt 0x0
	v_dual_mov_b32 v16, s6 :: v_dual_bitop2_b32 v7, s7, v7 bitop3:0x40
	v_and_b32_e32 v6, s6, v6
	s_delay_alu instid0(VALU_DEP_1) | instskip(NEXT) | instid1(VALU_DEP_1)
	v_mul_u64_e32 v[6:7], 24, v[6:7]
	v_add_nc_u64_e32 v[12:13], v[8:9], v[6:7]
	global_store_b64 v[12:13], v[18:19], off
	global_wb scope:SCOPE_SYS
	s_wait_storecnt 0x0
	s_wait_xcnt 0x0
	global_atomic_cmpswap_b64 v[8:9], v14, v[16:19], s[2:3] offset:32 th:TH_ATOMIC_RETURN scope:SCOPE_SYS
	s_wait_loadcnt 0x0
	v_cmpx_ne_u64_e64 v[8:9], v[18:19]
	s_cbranch_execz .LBB0_213
; %bb.211:
	s_mov_b32 s9, 0
.LBB0_212:                              ; =>This Inner Loop Header: Depth=1
	v_dual_mov_b32 v6, s6 :: v_dual_mov_b32 v7, s7
	s_sleep 1
	global_store_b64 v[12:13], v[8:9], off
	global_wb scope:SCOPE_SYS
	s_wait_storecnt 0x0
	s_wait_xcnt 0x0
	global_atomic_cmpswap_b64 v[6:7], v14, v[6:9], s[2:3] offset:32 th:TH_ATOMIC_RETURN scope:SCOPE_SYS
	s_wait_loadcnt 0x0
	v_cmp_eq_u64_e32 vcc_lo, v[6:7], v[8:9]
	v_mov_b64_e32 v[8:9], v[6:7]
	s_or_b32 s9, vcc_lo, s9
	s_delay_alu instid0(SALU_CYCLE_1)
	s_and_not1_b32 exec_lo, exec_lo, s9
	s_cbranch_execnz .LBB0_212
.LBB0_213:
	s_or_b32 exec_lo, exec_lo, s8
	v_mov_b32_e32 v9, 0
	s_mov_b32 s9, exec_lo
	s_mov_b32 s8, exec_lo
	v_mbcnt_lo_u32_b32 v8, s9, 0
	global_load_b64 v[6:7], v9, s[2:3] offset:16
	s_wait_xcnt 0x0
	v_cmpx_eq_u32_e32 0, v8
	s_cbranch_execz .LBB0_215
; %bb.214:
	s_bcnt1_i32_b32 s9, s9
	s_delay_alu instid0(SALU_CYCLE_1)
	v_mov_b32_e32 v8, s9
	global_wb scope:SCOPE_SYS
	s_wait_loadcnt 0x0
	s_wait_storecnt 0x0
	global_atomic_add_u64 v[6:7], v[8:9], off offset:8 scope:SCOPE_SYS
.LBB0_215:
	s_wait_xcnt 0x0
	s_or_b32 exec_lo, exec_lo, s8
	s_wait_loadcnt 0x0
	global_load_b64 v[8:9], v[6:7], off offset:16
	s_wait_loadcnt 0x0
	v_cmp_eq_u64_e32 vcc_lo, 0, v[8:9]
	s_cbranch_vccnz .LBB0_217
; %bb.216:
	global_load_b32 v6, v[6:7], off offset:24
	s_wait_xcnt 0x0
	v_mov_b32_e32 v7, 0
	s_wait_loadcnt 0x0
	v_readfirstlane_b32 s8, v6
	global_wb scope:SCOPE_SYS
	s_wait_storecnt 0x0
	global_store_b64 v[8:9], v[6:7], off scope:SCOPE_SYS
	s_and_b32 m0, s8, 0xffffff
	s_sendmsg sendmsg(MSG_INTERRUPT)
.LBB0_217:
	s_wait_xcnt 0x0
	s_or_b32 exec_lo, exec_lo, s1
	v_add_nc_u64_e32 v[6:7], v[10:11], v[4:5]
	s_branch .LBB0_221
.LBB0_218:                              ;   in Loop: Header=BB0_221 Depth=1
	s_wait_xcnt 0x0
	s_or_b32 exec_lo, exec_lo, s1
	s_delay_alu instid0(VALU_DEP_1)
	v_readfirstlane_b32 s1, v5
	s_cmp_eq_u32 s1, 0
	s_cbranch_scc1 .LBB0_220
; %bb.219:                              ;   in Loop: Header=BB0_221 Depth=1
	s_sleep 1
	s_cbranch_execnz .LBB0_221
	s_branch .LBB0_223
.LBB0_220:
	s_branch .LBB0_223
.LBB0_221:                              ; =>This Inner Loop Header: Depth=1
	v_mov_b32_e32 v5, 1
	s_and_saveexec_b32 s1, s0
	s_cbranch_execz .LBB0_218
; %bb.222:                              ;   in Loop: Header=BB0_221 Depth=1
	global_load_b32 v5, v[0:1], off offset:20 scope:SCOPE_SYS
	s_wait_loadcnt 0x0
	global_inv scope:SCOPE_SYS
	v_and_b32_e32 v5, 1, v5
	s_branch .LBB0_218
.LBB0_223:
	global_load_b64 v[6:7], v[6:7], off
	s_wait_xcnt 0x0
	s_and_saveexec_b32 s8, s0
	s_cbranch_execz .LBB0_227
; %bb.224:
	v_mov_b32_e32 v5, 0
	s_clause 0x2
	global_load_b64 v[0:1], v5, s[2:3] offset:40
	global_load_b64 v[12:13], v5, s[2:3] offset:24 scope:SCOPE_SYS
	global_load_b64 v[8:9], v5, s[2:3]
	s_wait_loadcnt 0x2
	v_readfirstlane_b32 s10, v0
	v_readfirstlane_b32 s11, v1
	s_add_nc_u64 s[0:1], s[10:11], 1
	s_delay_alu instid0(SALU_CYCLE_1) | instskip(NEXT) | instid1(SALU_CYCLE_1)
	s_add_nc_u64 s[6:7], s[0:1], s[6:7]
	s_cmp_eq_u64 s[6:7], 0
	s_cselect_b32 s1, s1, s7
	s_cselect_b32 s0, s0, s6
	v_mov_b32_e32 v11, s1
	s_and_b64 s[6:7], s[0:1], s[10:11]
	v_mov_b32_e32 v10, s0
	s_mul_u64 s[6:7], s[6:7], 24
	s_wait_loadcnt 0x0
	v_add_nc_u64_e32 v[0:1], s[6:7], v[8:9]
	global_store_b64 v[0:1], v[12:13], off
	global_wb scope:SCOPE_SYS
	s_wait_storecnt 0x0
	s_wait_xcnt 0x0
	global_atomic_cmpswap_b64 v[10:11], v5, v[10:13], s[2:3] offset:24 th:TH_ATOMIC_RETURN scope:SCOPE_SYS
	s_wait_loadcnt 0x0
	v_cmp_ne_u64_e32 vcc_lo, v[10:11], v[12:13]
	s_and_b32 exec_lo, exec_lo, vcc_lo
	s_cbranch_execz .LBB0_227
; %bb.225:
	s_mov_b32 s6, 0
.LBB0_226:                              ; =>This Inner Loop Header: Depth=1
	v_dual_mov_b32 v8, s0 :: v_dual_mov_b32 v9, s1
	s_sleep 1
	global_store_b64 v[0:1], v[10:11], off
	global_wb scope:SCOPE_SYS
	s_wait_storecnt 0x0
	s_wait_xcnt 0x0
	global_atomic_cmpswap_b64 v[8:9], v5, v[8:11], s[2:3] offset:24 th:TH_ATOMIC_RETURN scope:SCOPE_SYS
	s_wait_loadcnt 0x0
	v_cmp_eq_u64_e32 vcc_lo, v[8:9], v[10:11]
	v_mov_b64_e32 v[10:11], v[8:9]
	s_or_b32 s6, vcc_lo, s6
	s_delay_alu instid0(SALU_CYCLE_1)
	s_and_not1_b32 exec_lo, exec_lo, s6
	s_cbranch_execnz .LBB0_226
.LBB0_227:
	s_or_b32 exec_lo, exec_lo, s8
	s_get_pc_i64 s[6:7]
	s_add_nc_u64 s[6:7], s[6:7], .str.1@rel64+4
	s_delay_alu instid0(SALU_CYCLE_1)
	s_cmp_lg_u64 s[6:7], 0
	s_cbranch_scc0 .LBB0_306
; %bb.228:
	v_mov_b64_e32 v[14:15], 0x100000002
	s_wait_loadcnt 0x0
	v_dual_mov_b32 v13, 0 :: v_dual_bitop2_b32 v0, 2, v6 bitop3:0x40
	v_dual_mov_b32 v9, v7 :: v_dual_bitop2_b32 v8, -3, v6 bitop3:0x40
	s_mov_b64 s[8:9], 58
	s_branch .LBB0_230
.LBB0_229:                              ;   in Loop: Header=BB0_230 Depth=1
	s_or_b32 exec_lo, exec_lo, s14
	s_sub_nc_u64 s[8:9], s[8:9], s[10:11]
	s_add_nc_u64 s[6:7], s[6:7], s[10:11]
	s_cmp_lg_u64 s[8:9], 0
	s_cbranch_scc0 .LBB0_305
.LBB0_230:                              ; =>This Loop Header: Depth=1
                                        ;     Child Loop BB0_233 Depth 2
                                        ;     Child Loop BB0_240 Depth 2
                                        ;     Child Loop BB0_247 Depth 2
                                        ;     Child Loop BB0_254 Depth 2
                                        ;     Child Loop BB0_261 Depth 2
                                        ;     Child Loop BB0_268 Depth 2
                                        ;     Child Loop BB0_275 Depth 2
                                        ;     Child Loop BB0_282 Depth 2
                                        ;     Child Loop BB0_290 Depth 2
                                        ;     Child Loop BB0_299 Depth 2
                                        ;     Child Loop BB0_304 Depth 2
	v_min_u64 v[10:11], s[8:9], 56
	v_cmp_gt_u64_e64 s0, s[8:9], 7
	s_and_b32 vcc_lo, exec_lo, s0
	v_readfirstlane_b32 s10, v10
	v_readfirstlane_b32 s11, v11
	s_cbranch_vccnz .LBB0_235
; %bb.231:                              ;   in Loop: Header=BB0_230 Depth=1
	v_mov_b64_e32 v[10:11], 0
	s_cmp_eq_u64 s[8:9], 0
	s_cbranch_scc1 .LBB0_234
; %bb.232:                              ;   in Loop: Header=BB0_230 Depth=1
	s_mov_b64 s[0:1], 0
	s_mov_b64 s[12:13], 0
.LBB0_233:                              ;   Parent Loop BB0_230 Depth=1
                                        ; =>  This Inner Loop Header: Depth=2
	s_wait_xcnt 0x0
	s_add_nc_u64 s[14:15], s[6:7], s[12:13]
	s_add_nc_u64 s[12:13], s[12:13], 1
	global_load_u8 v1, v13, s[14:15]
	s_cmp_lg_u32 s10, s12
	s_wait_loadcnt 0x0
	v_and_b32_e32 v12, 0xffff, v1
	s_delay_alu instid0(VALU_DEP_1) | instskip(SKIP_1) | instid1(VALU_DEP_1)
	v_lshlrev_b64_e32 v[16:17], s0, v[12:13]
	s_add_nc_u64 s[0:1], s[0:1], 8
	v_or_b32_e32 v10, v16, v10
	s_delay_alu instid0(VALU_DEP_2)
	v_or_b32_e32 v11, v17, v11
	s_cbranch_scc1 .LBB0_233
.LBB0_234:                              ;   in Loop: Header=BB0_230 Depth=1
	s_mov_b64 s[12:13], s[6:7]
	s_mov_b32 s16, 0
	s_cbranch_execz .LBB0_236
	s_branch .LBB0_237
.LBB0_235:                              ;   in Loop: Header=BB0_230 Depth=1
	s_add_nc_u64 s[12:13], s[6:7], 8
	s_mov_b32 s16, 0
.LBB0_236:                              ;   in Loop: Header=BB0_230 Depth=1
	global_load_b64 v[10:11], v13, s[6:7]
	s_add_co_i32 s16, s10, -8
.LBB0_237:                              ;   in Loop: Header=BB0_230 Depth=1
	s_delay_alu instid0(SALU_CYCLE_1)
	s_cmp_gt_u32 s16, 7
	s_cbranch_scc1 .LBB0_242
; %bb.238:                              ;   in Loop: Header=BB0_230 Depth=1
	v_mov_b64_e32 v[16:17], 0
	s_cmp_eq_u32 s16, 0
	s_cbranch_scc1 .LBB0_241
; %bb.239:                              ;   in Loop: Header=BB0_230 Depth=1
	s_mov_b64 s[0:1], 0
	s_wait_xcnt 0x0
	s_mov_b64 s[14:15], 0
.LBB0_240:                              ;   Parent Loop BB0_230 Depth=1
                                        ; =>  This Inner Loop Header: Depth=2
	s_wait_xcnt 0x0
	s_add_nc_u64 s[18:19], s[12:13], s[14:15]
	s_add_nc_u64 s[14:15], s[14:15], 1
	global_load_u8 v1, v13, s[18:19]
	s_cmp_lg_u32 s16, s14
	s_wait_loadcnt 0x0
	v_and_b32_e32 v12, 0xffff, v1
	s_delay_alu instid0(VALU_DEP_1) | instskip(SKIP_1) | instid1(VALU_DEP_1)
	v_lshlrev_b64_e32 v[18:19], s0, v[12:13]
	s_add_nc_u64 s[0:1], s[0:1], 8
	v_or_b32_e32 v16, v18, v16
	s_delay_alu instid0(VALU_DEP_2)
	v_or_b32_e32 v17, v19, v17
	s_cbranch_scc1 .LBB0_240
.LBB0_241:                              ;   in Loop: Header=BB0_230 Depth=1
	s_wait_xcnt 0x0
	s_mov_b64 s[0:1], s[12:13]
	s_mov_b32 s17, 0
	s_cbranch_execz .LBB0_243
	s_branch .LBB0_244
.LBB0_242:                              ;   in Loop: Header=BB0_230 Depth=1
	s_add_nc_u64 s[0:1], s[12:13], 8
	s_wait_xcnt 0x0
                                        ; implicit-def: $vgpr16_vgpr17
	s_mov_b32 s17, 0
.LBB0_243:                              ;   in Loop: Header=BB0_230 Depth=1
	global_load_b64 v[16:17], v13, s[12:13]
	s_add_co_i32 s17, s16, -8
.LBB0_244:                              ;   in Loop: Header=BB0_230 Depth=1
	s_delay_alu instid0(SALU_CYCLE_1)
	s_cmp_gt_u32 s17, 7
	s_cbranch_scc1 .LBB0_249
; %bb.245:                              ;   in Loop: Header=BB0_230 Depth=1
	v_mov_b64_e32 v[18:19], 0
	s_cmp_eq_u32 s17, 0
	s_cbranch_scc1 .LBB0_248
; %bb.246:                              ;   in Loop: Header=BB0_230 Depth=1
	s_wait_xcnt 0x0
	s_mov_b64 s[12:13], 0
	s_mov_b64 s[14:15], 0
.LBB0_247:                              ;   Parent Loop BB0_230 Depth=1
                                        ; =>  This Inner Loop Header: Depth=2
	s_wait_xcnt 0x0
	s_add_nc_u64 s[18:19], s[0:1], s[14:15]
	s_add_nc_u64 s[14:15], s[14:15], 1
	global_load_u8 v1, v13, s[18:19]
	s_cmp_lg_u32 s17, s14
	s_wait_loadcnt 0x0
	v_and_b32_e32 v12, 0xffff, v1
	s_delay_alu instid0(VALU_DEP_1) | instskip(SKIP_1) | instid1(VALU_DEP_1)
	v_lshlrev_b64_e32 v[20:21], s12, v[12:13]
	s_add_nc_u64 s[12:13], s[12:13], 8
	v_or_b32_e32 v18, v20, v18
	s_delay_alu instid0(VALU_DEP_2)
	v_or_b32_e32 v19, v21, v19
	s_cbranch_scc1 .LBB0_247
.LBB0_248:                              ;   in Loop: Header=BB0_230 Depth=1
	s_wait_xcnt 0x0
	s_mov_b64 s[12:13], s[0:1]
	s_mov_b32 s16, 0
	s_cbranch_execz .LBB0_250
	s_branch .LBB0_251
.LBB0_249:                              ;   in Loop: Header=BB0_230 Depth=1
	s_wait_xcnt 0x0
	s_add_nc_u64 s[12:13], s[0:1], 8
	s_mov_b32 s16, 0
.LBB0_250:                              ;   in Loop: Header=BB0_230 Depth=1
	global_load_b64 v[18:19], v13, s[0:1]
	s_add_co_i32 s16, s17, -8
.LBB0_251:                              ;   in Loop: Header=BB0_230 Depth=1
	s_delay_alu instid0(SALU_CYCLE_1)
	s_cmp_gt_u32 s16, 7
	s_cbranch_scc1 .LBB0_256
; %bb.252:                              ;   in Loop: Header=BB0_230 Depth=1
	v_mov_b64_e32 v[20:21], 0
	s_cmp_eq_u32 s16, 0
	s_cbranch_scc1 .LBB0_255
; %bb.253:                              ;   in Loop: Header=BB0_230 Depth=1
	s_wait_xcnt 0x0
	s_mov_b64 s[0:1], 0
	s_mov_b64 s[14:15], 0
.LBB0_254:                              ;   Parent Loop BB0_230 Depth=1
                                        ; =>  This Inner Loop Header: Depth=2
	s_wait_xcnt 0x0
	s_add_nc_u64 s[18:19], s[12:13], s[14:15]
	s_add_nc_u64 s[14:15], s[14:15], 1
	global_load_u8 v1, v13, s[18:19]
	s_cmp_lg_u32 s16, s14
	s_wait_loadcnt 0x0
	v_and_b32_e32 v12, 0xffff, v1
	s_delay_alu instid0(VALU_DEP_1) | instskip(SKIP_1) | instid1(VALU_DEP_1)
	v_lshlrev_b64_e32 v[22:23], s0, v[12:13]
	s_add_nc_u64 s[0:1], s[0:1], 8
	v_or_b32_e32 v20, v22, v20
	s_delay_alu instid0(VALU_DEP_2)
	v_or_b32_e32 v21, v23, v21
	s_cbranch_scc1 .LBB0_254
.LBB0_255:                              ;   in Loop: Header=BB0_230 Depth=1
	s_wait_xcnt 0x0
	s_mov_b64 s[0:1], s[12:13]
	s_mov_b32 s17, 0
	s_cbranch_execz .LBB0_257
	s_branch .LBB0_258
.LBB0_256:                              ;   in Loop: Header=BB0_230 Depth=1
	s_wait_xcnt 0x0
	s_add_nc_u64 s[0:1], s[12:13], 8
                                        ; implicit-def: $vgpr20_vgpr21
	s_mov_b32 s17, 0
.LBB0_257:                              ;   in Loop: Header=BB0_230 Depth=1
	global_load_b64 v[20:21], v13, s[12:13]
	s_add_co_i32 s17, s16, -8
.LBB0_258:                              ;   in Loop: Header=BB0_230 Depth=1
	s_delay_alu instid0(SALU_CYCLE_1)
	s_cmp_gt_u32 s17, 7
	s_cbranch_scc1 .LBB0_263
; %bb.259:                              ;   in Loop: Header=BB0_230 Depth=1
	v_mov_b64_e32 v[22:23], 0
	s_cmp_eq_u32 s17, 0
	s_cbranch_scc1 .LBB0_262
; %bb.260:                              ;   in Loop: Header=BB0_230 Depth=1
	s_wait_xcnt 0x0
	s_mov_b64 s[12:13], 0
	s_mov_b64 s[14:15], 0
.LBB0_261:                              ;   Parent Loop BB0_230 Depth=1
                                        ; =>  This Inner Loop Header: Depth=2
	s_wait_xcnt 0x0
	s_add_nc_u64 s[18:19], s[0:1], s[14:15]
	s_add_nc_u64 s[14:15], s[14:15], 1
	global_load_u8 v1, v13, s[18:19]
	s_cmp_lg_u32 s17, s14
	s_wait_loadcnt 0x0
	v_and_b32_e32 v12, 0xffff, v1
	s_delay_alu instid0(VALU_DEP_1) | instskip(SKIP_1) | instid1(VALU_DEP_1)
	v_lshlrev_b64_e32 v[24:25], s12, v[12:13]
	s_add_nc_u64 s[12:13], s[12:13], 8
	v_or_b32_e32 v22, v24, v22
	s_delay_alu instid0(VALU_DEP_2)
	v_or_b32_e32 v23, v25, v23
	s_cbranch_scc1 .LBB0_261
.LBB0_262:                              ;   in Loop: Header=BB0_230 Depth=1
	s_wait_xcnt 0x0
	s_mov_b64 s[12:13], s[0:1]
	s_mov_b32 s16, 0
	s_cbranch_execz .LBB0_264
	s_branch .LBB0_265
.LBB0_263:                              ;   in Loop: Header=BB0_230 Depth=1
	s_wait_xcnt 0x0
	s_add_nc_u64 s[12:13], s[0:1], 8
	s_mov_b32 s16, 0
.LBB0_264:                              ;   in Loop: Header=BB0_230 Depth=1
	global_load_b64 v[22:23], v13, s[0:1]
	s_add_co_i32 s16, s17, -8
.LBB0_265:                              ;   in Loop: Header=BB0_230 Depth=1
	s_delay_alu instid0(SALU_CYCLE_1)
	s_cmp_gt_u32 s16, 7
	s_cbranch_scc1 .LBB0_270
; %bb.266:                              ;   in Loop: Header=BB0_230 Depth=1
	v_mov_b64_e32 v[24:25], 0
	s_cmp_eq_u32 s16, 0
	s_cbranch_scc1 .LBB0_269
; %bb.267:                              ;   in Loop: Header=BB0_230 Depth=1
	s_wait_xcnt 0x0
	s_mov_b64 s[0:1], 0
	s_mov_b64 s[14:15], 0
.LBB0_268:                              ;   Parent Loop BB0_230 Depth=1
                                        ; =>  This Inner Loop Header: Depth=2
	s_wait_xcnt 0x0
	s_add_nc_u64 s[18:19], s[12:13], s[14:15]
	s_add_nc_u64 s[14:15], s[14:15], 1
	global_load_u8 v1, v13, s[18:19]
	s_cmp_lg_u32 s16, s14
	s_wait_loadcnt 0x0
	v_and_b32_e32 v12, 0xffff, v1
	s_delay_alu instid0(VALU_DEP_1) | instskip(SKIP_1) | instid1(VALU_DEP_1)
	v_lshlrev_b64_e32 v[26:27], s0, v[12:13]
	s_add_nc_u64 s[0:1], s[0:1], 8
	v_or_b32_e32 v24, v26, v24
	s_delay_alu instid0(VALU_DEP_2)
	v_or_b32_e32 v25, v27, v25
	s_cbranch_scc1 .LBB0_268
.LBB0_269:                              ;   in Loop: Header=BB0_230 Depth=1
	s_wait_xcnt 0x0
	s_mov_b64 s[0:1], s[12:13]
	s_mov_b32 s17, 0
	s_cbranch_execz .LBB0_271
	s_branch .LBB0_272
.LBB0_270:                              ;   in Loop: Header=BB0_230 Depth=1
	s_wait_xcnt 0x0
	s_add_nc_u64 s[0:1], s[12:13], 8
                                        ; implicit-def: $vgpr24_vgpr25
	s_mov_b32 s17, 0
.LBB0_271:                              ;   in Loop: Header=BB0_230 Depth=1
	global_load_b64 v[24:25], v13, s[12:13]
	s_add_co_i32 s17, s16, -8
.LBB0_272:                              ;   in Loop: Header=BB0_230 Depth=1
	s_delay_alu instid0(SALU_CYCLE_1)
	s_cmp_gt_u32 s17, 7
	s_cbranch_scc1 .LBB0_277
; %bb.273:                              ;   in Loop: Header=BB0_230 Depth=1
	v_mov_b64_e32 v[26:27], 0
	s_cmp_eq_u32 s17, 0
	s_cbranch_scc1 .LBB0_276
; %bb.274:                              ;   in Loop: Header=BB0_230 Depth=1
	s_wait_xcnt 0x0
	s_mov_b64 s[12:13], 0
	s_mov_b64 s[14:15], s[0:1]
.LBB0_275:                              ;   Parent Loop BB0_230 Depth=1
                                        ; =>  This Inner Loop Header: Depth=2
	global_load_u8 v1, v13, s[14:15]
	s_add_co_i32 s17, s17, -1
	s_wait_xcnt 0x0
	s_add_nc_u64 s[14:15], s[14:15], 1
	s_cmp_lg_u32 s17, 0
	s_wait_loadcnt 0x0
	v_and_b32_e32 v12, 0xffff, v1
	s_delay_alu instid0(VALU_DEP_1) | instskip(SKIP_1) | instid1(VALU_DEP_1)
	v_lshlrev_b64_e32 v[28:29], s12, v[12:13]
	s_add_nc_u64 s[12:13], s[12:13], 8
	v_or_b32_e32 v26, v28, v26
	s_delay_alu instid0(VALU_DEP_2)
	v_or_b32_e32 v27, v29, v27
	s_cbranch_scc1 .LBB0_275
.LBB0_276:                              ;   in Loop: Header=BB0_230 Depth=1
	s_wait_xcnt 0x0
	s_cbranch_execz .LBB0_278
	s_branch .LBB0_279
.LBB0_277:                              ;   in Loop: Header=BB0_230 Depth=1
	s_wait_xcnt 0x0
.LBB0_278:                              ;   in Loop: Header=BB0_230 Depth=1
	global_load_b64 v[26:27], v13, s[0:1]
.LBB0_279:                              ;   in Loop: Header=BB0_230 Depth=1
	s_wait_xcnt 0x0
	v_readfirstlane_b32 s0, v3
	v_mov_b64_e32 v[32:33], 0
	s_delay_alu instid0(VALU_DEP_2)
	v_cmp_eq_u32_e64 s0, s0, v3
	s_and_saveexec_b32 s1, s0
	s_cbranch_execz .LBB0_285
; %bb.280:                              ;   in Loop: Header=BB0_230 Depth=1
	global_load_b64 v[30:31], v13, s[2:3] offset:24 scope:SCOPE_SYS
	s_wait_loadcnt 0x0
	global_inv scope:SCOPE_SYS
	s_clause 0x1
	global_load_b64 v[28:29], v13, s[2:3] offset:40
	global_load_b64 v[32:33], v13, s[2:3]
	s_mov_b32 s12, exec_lo
	s_wait_loadcnt 0x1
	v_and_b32_e32 v28, v28, v30
	v_and_b32_e32 v29, v29, v31
	s_delay_alu instid0(VALU_DEP_1) | instskip(SKIP_1) | instid1(VALU_DEP_1)
	v_mul_u64_e32 v[28:29], 24, v[28:29]
	s_wait_loadcnt 0x0
	v_add_nc_u64_e32 v[28:29], v[32:33], v[28:29]
	global_load_b64 v[28:29], v[28:29], off scope:SCOPE_SYS
	s_wait_xcnt 0x0
	s_wait_loadcnt 0x0
	global_atomic_cmpswap_b64 v[32:33], v13, v[28:31], s[2:3] offset:24 th:TH_ATOMIC_RETURN scope:SCOPE_SYS
	s_wait_loadcnt 0x0
	global_inv scope:SCOPE_SYS
	s_wait_xcnt 0x0
	v_cmpx_ne_u64_e64 v[32:33], v[30:31]
	s_cbranch_execz .LBB0_284
; %bb.281:                              ;   in Loop: Header=BB0_230 Depth=1
	s_mov_b32 s13, 0
.LBB0_282:                              ;   Parent Loop BB0_230 Depth=1
                                        ; =>  This Inner Loop Header: Depth=2
	s_sleep 1
	s_clause 0x1
	global_load_b64 v[28:29], v13, s[2:3] offset:40
	global_load_b64 v[34:35], v13, s[2:3]
	v_mov_b64_e32 v[30:31], v[32:33]
	s_wait_loadcnt 0x1
	s_delay_alu instid0(VALU_DEP_1) | instskip(SKIP_1) | instid1(VALU_DEP_1)
	v_and_b32_e32 v1, v28, v30
	s_wait_loadcnt 0x0
	v_mad_nc_u64_u32 v[32:33], v1, 24, v[34:35]
	s_delay_alu instid0(VALU_DEP_3) | instskip(NEXT) | instid1(VALU_DEP_1)
	v_and_b32_e32 v1, v29, v31
	v_mad_u32 v33, v1, 24, v33
	global_load_b64 v[28:29], v[32:33], off scope:SCOPE_SYS
	s_wait_xcnt 0x0
	s_wait_loadcnt 0x0
	global_atomic_cmpswap_b64 v[32:33], v13, v[28:31], s[2:3] offset:24 th:TH_ATOMIC_RETURN scope:SCOPE_SYS
	s_wait_loadcnt 0x0
	global_inv scope:SCOPE_SYS
	v_cmp_eq_u64_e32 vcc_lo, v[32:33], v[30:31]
	s_or_b32 s13, vcc_lo, s13
	s_wait_xcnt 0x0
	s_and_not1_b32 exec_lo, exec_lo, s13
	s_cbranch_execnz .LBB0_282
; %bb.283:                              ;   in Loop: Header=BB0_230 Depth=1
	s_or_b32 exec_lo, exec_lo, s13
.LBB0_284:                              ;   in Loop: Header=BB0_230 Depth=1
	s_delay_alu instid0(SALU_CYCLE_1)
	s_or_b32 exec_lo, exec_lo, s12
.LBB0_285:                              ;   in Loop: Header=BB0_230 Depth=1
	s_delay_alu instid0(SALU_CYCLE_1)
	s_or_b32 exec_lo, exec_lo, s1
	s_clause 0x1
	global_load_b64 v[34:35], v13, s[2:3] offset:40
	global_load_b128 v[28:31], v13, s[2:3]
	v_readfirstlane_b32 s12, v32
	v_readfirstlane_b32 s13, v33
	s_mov_b32 s1, exec_lo
	s_wait_loadcnt 0x1
	v_and_b32_e32 v34, s12, v34
	v_and_b32_e32 v35, s13, v35
	s_delay_alu instid0(VALU_DEP_1) | instskip(SKIP_1) | instid1(VALU_DEP_1)
	v_mul_u64_e32 v[32:33], 24, v[34:35]
	s_wait_loadcnt 0x0
	v_add_nc_u64_e32 v[32:33], v[28:29], v[32:33]
	s_wait_xcnt 0x0
	s_and_saveexec_b32 s14, s0
	s_cbranch_execz .LBB0_287
; %bb.286:                              ;   in Loop: Header=BB0_230 Depth=1
	v_mov_b32_e32 v12, s1
	global_store_b128 v[32:33], v[12:15], off offset:8
.LBB0_287:                              ;   in Loop: Header=BB0_230 Depth=1
	s_wait_xcnt 0x0
	s_or_b32 exec_lo, exec_lo, s14
	v_cmp_lt_u64_e64 vcc_lo, s[8:9], 57
	v_lshlrev_b64_e32 v[34:35], 12, v[34:35]
	v_and_b32_e32 v5, 0xffffff1f, v8
	s_lshl_b32 s1, s10, 2
	s_delay_alu instid0(SALU_CYCLE_1) | instskip(SKIP_1) | instid1(VALU_DEP_3)
	s_add_co_i32 s1, s1, 28
	v_cndmask_b32_e32 v1, 0, v0, vcc_lo
	v_add_nc_u64_e32 v[30:31], v[30:31], v[34:35]
	s_delay_alu instid0(VALU_DEP_2) | instskip(NEXT) | instid1(VALU_DEP_2)
	v_or_b32_e32 v1, v5, v1
	v_readfirstlane_b32 s14, v30
	s_delay_alu instid0(VALU_DEP_3) | instskip(NEXT) | instid1(VALU_DEP_3)
	v_readfirstlane_b32 s15, v31
	v_and_or_b32 v8, 0x1e0, s1, v1
	s_clause 0x3
	global_store_b128 v4, v[8:11], s[14:15]
	global_store_b128 v4, v[16:19], s[14:15] offset:16
	global_store_b128 v4, v[20:23], s[14:15] offset:32
	;; [unrolled: 1-line block ×3, first 2 shown]
	s_wait_xcnt 0x0
	s_and_saveexec_b32 s1, s0
	s_cbranch_execz .LBB0_295
; %bb.288:                              ;   in Loop: Header=BB0_230 Depth=1
	s_clause 0x1
	global_load_b64 v[20:21], v13, s[2:3] offset:32 scope:SCOPE_SYS
	global_load_b64 v[8:9], v13, s[2:3] offset:40
	s_mov_b32 s14, exec_lo
	v_dual_mov_b32 v18, s12 :: v_dual_mov_b32 v19, s13
	s_wait_loadcnt 0x0
	v_and_b32_e32 v9, s13, v9
	v_and_b32_e32 v8, s12, v8
	s_delay_alu instid0(VALU_DEP_1) | instskip(NEXT) | instid1(VALU_DEP_1)
	v_mul_u64_e32 v[8:9], 24, v[8:9]
	v_add_nc_u64_e32 v[16:17], v[28:29], v[8:9]
	global_store_b64 v[16:17], v[20:21], off
	global_wb scope:SCOPE_SYS
	s_wait_storecnt 0x0
	s_wait_xcnt 0x0
	global_atomic_cmpswap_b64 v[10:11], v13, v[18:21], s[2:3] offset:32 th:TH_ATOMIC_RETURN scope:SCOPE_SYS
	s_wait_loadcnt 0x0
	v_cmpx_ne_u64_e64 v[10:11], v[20:21]
	s_cbranch_execz .LBB0_291
; %bb.289:                              ;   in Loop: Header=BB0_230 Depth=1
	s_mov_b32 s15, 0
.LBB0_290:                              ;   Parent Loop BB0_230 Depth=1
                                        ; =>  This Inner Loop Header: Depth=2
	v_dual_mov_b32 v8, s12 :: v_dual_mov_b32 v9, s13
	s_sleep 1
	global_store_b64 v[16:17], v[10:11], off
	global_wb scope:SCOPE_SYS
	s_wait_storecnt 0x0
	s_wait_xcnt 0x0
	global_atomic_cmpswap_b64 v[8:9], v13, v[8:11], s[2:3] offset:32 th:TH_ATOMIC_RETURN scope:SCOPE_SYS
	s_wait_loadcnt 0x0
	v_cmp_eq_u64_e32 vcc_lo, v[8:9], v[10:11]
	v_mov_b64_e32 v[10:11], v[8:9]
	s_or_b32 s15, vcc_lo, s15
	s_delay_alu instid0(SALU_CYCLE_1)
	s_and_not1_b32 exec_lo, exec_lo, s15
	s_cbranch_execnz .LBB0_290
.LBB0_291:                              ;   in Loop: Header=BB0_230 Depth=1
	s_or_b32 exec_lo, exec_lo, s14
	global_load_b64 v[8:9], v13, s[2:3] offset:16
	s_mov_b32 s15, exec_lo
	s_mov_b32 s14, exec_lo
	v_mbcnt_lo_u32_b32 v1, s15, 0
	s_wait_xcnt 0x0
	s_delay_alu instid0(VALU_DEP_1)
	v_cmpx_eq_u32_e32 0, v1
	s_cbranch_execz .LBB0_293
; %bb.292:                              ;   in Loop: Header=BB0_230 Depth=1
	s_bcnt1_i32_b32 s15, s15
	s_delay_alu instid0(SALU_CYCLE_1)
	v_mov_b32_e32 v12, s15
	global_wb scope:SCOPE_SYS
	s_wait_loadcnt 0x0
	s_wait_storecnt 0x0
	global_atomic_add_u64 v[8:9], v[12:13], off offset:8 scope:SCOPE_SYS
.LBB0_293:                              ;   in Loop: Header=BB0_230 Depth=1
	s_wait_xcnt 0x0
	s_or_b32 exec_lo, exec_lo, s14
	s_wait_loadcnt 0x0
	global_load_b64 v[10:11], v[8:9], off offset:16
	s_wait_loadcnt 0x0
	v_cmp_eq_u64_e32 vcc_lo, 0, v[10:11]
	s_cbranch_vccnz .LBB0_295
; %bb.294:                              ;   in Loop: Header=BB0_230 Depth=1
	global_load_b32 v12, v[8:9], off offset:24
	s_wait_loadcnt 0x0
	v_readfirstlane_b32 s14, v12
	global_wb scope:SCOPE_SYS
	s_wait_storecnt 0x0
	s_wait_xcnt 0x0
	global_store_b64 v[10:11], v[12:13], off scope:SCOPE_SYS
	s_and_b32 m0, s14, 0xffffff
	s_sendmsg sendmsg(MSG_INTERRUPT)
.LBB0_295:                              ;   in Loop: Header=BB0_230 Depth=1
	s_wait_xcnt 0x0
	s_or_b32 exec_lo, exec_lo, s1
	v_mov_b32_e32 v5, v13
	s_delay_alu instid0(VALU_DEP_1)
	v_add_nc_u64_e32 v[8:9], v[30:31], v[4:5]
	s_branch .LBB0_299
.LBB0_296:                              ;   in Loop: Header=BB0_299 Depth=2
	s_wait_xcnt 0x0
	s_or_b32 exec_lo, exec_lo, s1
	s_delay_alu instid0(VALU_DEP_1)
	v_readfirstlane_b32 s1, v1
	s_cmp_eq_u32 s1, 0
	s_cbranch_scc1 .LBB0_298
; %bb.297:                              ;   in Loop: Header=BB0_299 Depth=2
	s_sleep 1
	s_cbranch_execnz .LBB0_299
	s_branch .LBB0_301
.LBB0_298:                              ;   in Loop: Header=BB0_230 Depth=1
	s_branch .LBB0_301
.LBB0_299:                              ;   Parent Loop BB0_230 Depth=1
                                        ; =>  This Inner Loop Header: Depth=2
	v_mov_b32_e32 v1, 1
	s_and_saveexec_b32 s1, s0
	s_cbranch_execz .LBB0_296
; %bb.300:                              ;   in Loop: Header=BB0_299 Depth=2
	global_load_b32 v1, v[32:33], off offset:20 scope:SCOPE_SYS
	s_wait_loadcnt 0x0
	global_inv scope:SCOPE_SYS
	v_and_b32_e32 v1, 1, v1
	s_branch .LBB0_296
.LBB0_301:                              ;   in Loop: Header=BB0_230 Depth=1
	global_load_b64 v[8:9], v[8:9], off
	s_wait_xcnt 0x0
	s_and_saveexec_b32 s14, s0
	s_cbranch_execz .LBB0_229
; %bb.302:                              ;   in Loop: Header=BB0_230 Depth=1
	s_clause 0x2
	global_load_b64 v[10:11], v13, s[2:3] offset:40
	global_load_b64 v[20:21], v13, s[2:3] offset:24 scope:SCOPE_SYS
	global_load_b64 v[16:17], v13, s[2:3]
	s_wait_loadcnt 0x2
	v_readfirstlane_b32 s16, v10
	v_readfirstlane_b32 s17, v11
	s_add_nc_u64 s[0:1], s[16:17], 1
	s_delay_alu instid0(SALU_CYCLE_1) | instskip(NEXT) | instid1(SALU_CYCLE_1)
	s_add_nc_u64 s[12:13], s[0:1], s[12:13]
	s_cmp_eq_u64 s[12:13], 0
	s_cselect_b32 s1, s1, s13
	s_cselect_b32 s0, s0, s12
	s_delay_alu instid0(SALU_CYCLE_1) | instskip(SKIP_1) | instid1(SALU_CYCLE_1)
	v_dual_mov_b32 v19, s1 :: v_dual_mov_b32 v18, s0
	s_and_b64 s[12:13], s[0:1], s[16:17]
	s_mul_u64 s[12:13], s[12:13], 24
	s_wait_loadcnt 0x0
	v_add_nc_u64_e32 v[10:11], s[12:13], v[16:17]
	global_store_b64 v[10:11], v[20:21], off
	global_wb scope:SCOPE_SYS
	s_wait_storecnt 0x0
	s_wait_xcnt 0x0
	global_atomic_cmpswap_b64 v[18:19], v13, v[18:21], s[2:3] offset:24 th:TH_ATOMIC_RETURN scope:SCOPE_SYS
	s_wait_loadcnt 0x0
	v_cmp_ne_u64_e32 vcc_lo, v[18:19], v[20:21]
	s_and_b32 exec_lo, exec_lo, vcc_lo
	s_cbranch_execz .LBB0_229
; %bb.303:                              ;   in Loop: Header=BB0_230 Depth=1
	s_mov_b32 s12, 0
.LBB0_304:                              ;   Parent Loop BB0_230 Depth=1
                                        ; =>  This Inner Loop Header: Depth=2
	v_dual_mov_b32 v16, s0 :: v_dual_mov_b32 v17, s1
	s_sleep 1
	global_store_b64 v[10:11], v[18:19], off
	global_wb scope:SCOPE_SYS
	s_wait_storecnt 0x0
	s_wait_xcnt 0x0
	global_atomic_cmpswap_b64 v[16:17], v13, v[16:19], s[2:3] offset:24 th:TH_ATOMIC_RETURN scope:SCOPE_SYS
	s_wait_loadcnt 0x0
	v_cmp_eq_u64_e32 vcc_lo, v[16:17], v[18:19]
	v_mov_b64_e32 v[18:19], v[16:17]
	s_or_b32 s12, vcc_lo, s12
	s_delay_alu instid0(SALU_CYCLE_1)
	s_and_not1_b32 exec_lo, exec_lo, s12
	s_cbranch_execnz .LBB0_304
	s_branch .LBB0_229
.LBB0_305:
	s_branch .LBB0_334
.LBB0_306:
                                        ; implicit-def: $vgpr8_vgpr9
	s_cbranch_execz .LBB0_334
; %bb.307:
	v_readfirstlane_b32 s0, v3
	v_mov_b64_e32 v[0:1], 0
	s_delay_alu instid0(VALU_DEP_2)
	v_cmp_eq_u32_e64 s0, s0, v3
	s_and_saveexec_b32 s1, s0
	s_cbranch_execz .LBB0_313
; %bb.308:
	v_mov_b32_e32 v5, 0
	s_mov_b32 s6, exec_lo
	global_load_b64 v[10:11], v5, s[2:3] offset:24 scope:SCOPE_SYS
	s_wait_loadcnt 0x0
	global_inv scope:SCOPE_SYS
	s_clause 0x1
	global_load_b64 v[0:1], v5, s[2:3] offset:40
	global_load_b64 v[8:9], v5, s[2:3]
	s_wait_loadcnt 0x1
	v_and_b32_e32 v0, v0, v10
	v_and_b32_e32 v1, v1, v11
	s_delay_alu instid0(VALU_DEP_1) | instskip(SKIP_1) | instid1(VALU_DEP_1)
	v_mul_u64_e32 v[0:1], 24, v[0:1]
	s_wait_loadcnt 0x0
	v_add_nc_u64_e32 v[0:1], v[8:9], v[0:1]
	global_load_b64 v[8:9], v[0:1], off scope:SCOPE_SYS
	s_wait_xcnt 0x0
	s_wait_loadcnt 0x0
	global_atomic_cmpswap_b64 v[0:1], v5, v[8:11], s[2:3] offset:24 th:TH_ATOMIC_RETURN scope:SCOPE_SYS
	s_wait_loadcnt 0x0
	global_inv scope:SCOPE_SYS
	s_wait_xcnt 0x0
	v_cmpx_ne_u64_e64 v[0:1], v[10:11]
	s_cbranch_execz .LBB0_312
; %bb.309:
	s_mov_b32 s7, 0
.LBB0_310:                              ; =>This Inner Loop Header: Depth=1
	s_sleep 1
	s_clause 0x1
	global_load_b64 v[8:9], v5, s[2:3] offset:40
	global_load_b64 v[12:13], v5, s[2:3]
	v_mov_b64_e32 v[10:11], v[0:1]
	s_wait_loadcnt 0x1
	s_delay_alu instid0(VALU_DEP_1) | instskip(NEXT) | instid1(VALU_DEP_2)
	v_and_b32_e32 v0, v8, v10
	v_and_b32_e32 v8, v9, v11
	s_wait_loadcnt 0x0
	s_delay_alu instid0(VALU_DEP_2) | instskip(NEXT) | instid1(VALU_DEP_1)
	v_mad_nc_u64_u32 v[0:1], v0, 24, v[12:13]
	v_mad_u32 v1, v8, 24, v1
	global_load_b64 v[8:9], v[0:1], off scope:SCOPE_SYS
	s_wait_xcnt 0x0
	s_wait_loadcnt 0x0
	global_atomic_cmpswap_b64 v[0:1], v5, v[8:11], s[2:3] offset:24 th:TH_ATOMIC_RETURN scope:SCOPE_SYS
	s_wait_loadcnt 0x0
	global_inv scope:SCOPE_SYS
	v_cmp_eq_u64_e32 vcc_lo, v[0:1], v[10:11]
	s_or_b32 s7, vcc_lo, s7
	s_wait_xcnt 0x0
	s_and_not1_b32 exec_lo, exec_lo, s7
	s_cbranch_execnz .LBB0_310
; %bb.311:
	s_or_b32 exec_lo, exec_lo, s7
.LBB0_312:
	s_delay_alu instid0(SALU_CYCLE_1)
	s_or_b32 exec_lo, exec_lo, s6
.LBB0_313:
	s_delay_alu instid0(SALU_CYCLE_1)
	s_or_b32 exec_lo, exec_lo, s1
	v_readfirstlane_b32 s6, v0
	v_mov_b32_e32 v5, 0
	v_readfirstlane_b32 s7, v1
	s_mov_b32 s1, exec_lo
	s_wait_loadcnt 0x0
	s_clause 0x1
	global_load_b64 v[8:9], v5, s[2:3] offset:40
	global_load_b128 v[10:13], v5, s[2:3]
	s_wait_loadcnt 0x1
	v_and_b32_e32 v8, s6, v8
	v_and_b32_e32 v9, s7, v9
	s_delay_alu instid0(VALU_DEP_1) | instskip(SKIP_1) | instid1(VALU_DEP_1)
	v_mul_u64_e32 v[0:1], 24, v[8:9]
	s_wait_loadcnt 0x0
	v_add_nc_u64_e32 v[0:1], v[10:11], v[0:1]
	s_wait_xcnt 0x0
	s_and_saveexec_b32 s8, s0
	s_cbranch_execz .LBB0_315
; %bb.314:
	v_mov_b64_e32 v[16:17], 0x100000002
	v_dual_mov_b32 v14, s1 :: v_dual_mov_b32 v15, v5
	global_store_b128 v[0:1], v[14:17], off offset:8
.LBB0_315:
	s_wait_xcnt 0x0
	s_or_b32 exec_lo, exec_lo, s8
	v_lshlrev_b64_e32 v[8:9], 12, v[8:9]
	s_mov_b32 s8, 0
	v_and_or_b32 v6, 0xffffff1f, v6, 32
	s_mov_b32 s10, s8
	s_mov_b32 s11, s8
	;; [unrolled: 1-line block ×3, first 2 shown]
	v_mov_b64_e32 v[16:17], s[10:11]
	v_add_nc_u64_e32 v[12:13], v[12:13], v[8:9]
	v_mov_b64_e32 v[14:15], s[8:9]
	v_dual_mov_b32 v8, v5 :: v_dual_mov_b32 v9, v5
	s_delay_alu instid0(VALU_DEP_3) | instskip(NEXT) | instid1(VALU_DEP_4)
	v_readfirstlane_b32 s12, v12
	v_readfirstlane_b32 s13, v13
	s_clause 0x3
	global_store_b128 v4, v[6:9], s[12:13]
	global_store_b128 v4, v[14:17], s[12:13] offset:16
	global_store_b128 v4, v[14:17], s[12:13] offset:32
	;; [unrolled: 1-line block ×3, first 2 shown]
	s_wait_xcnt 0x0
	s_and_saveexec_b32 s1, s0
	s_cbranch_execz .LBB0_323
; %bb.316:
	v_dual_mov_b32 v14, 0 :: v_dual_mov_b32 v17, s7
	s_mov_b32 s8, exec_lo
	s_clause 0x1
	global_load_b64 v[18:19], v14, s[2:3] offset:32 scope:SCOPE_SYS
	global_load_b64 v[6:7], v14, s[2:3] offset:40
	s_wait_loadcnt 0x0
	v_dual_mov_b32 v16, s6 :: v_dual_bitop2_b32 v7, s7, v7 bitop3:0x40
	v_and_b32_e32 v6, s6, v6
	s_delay_alu instid0(VALU_DEP_1) | instskip(NEXT) | instid1(VALU_DEP_1)
	v_mul_u64_e32 v[6:7], 24, v[6:7]
	v_add_nc_u64_e32 v[10:11], v[10:11], v[6:7]
	global_store_b64 v[10:11], v[18:19], off
	global_wb scope:SCOPE_SYS
	s_wait_storecnt 0x0
	s_wait_xcnt 0x0
	global_atomic_cmpswap_b64 v[8:9], v14, v[16:19], s[2:3] offset:32 th:TH_ATOMIC_RETURN scope:SCOPE_SYS
	s_wait_loadcnt 0x0
	v_cmpx_ne_u64_e64 v[8:9], v[18:19]
	s_cbranch_execz .LBB0_319
; %bb.317:
	s_mov_b32 s9, 0
.LBB0_318:                              ; =>This Inner Loop Header: Depth=1
	v_dual_mov_b32 v6, s6 :: v_dual_mov_b32 v7, s7
	s_sleep 1
	global_store_b64 v[10:11], v[8:9], off
	global_wb scope:SCOPE_SYS
	s_wait_storecnt 0x0
	s_wait_xcnt 0x0
	global_atomic_cmpswap_b64 v[6:7], v14, v[6:9], s[2:3] offset:32 th:TH_ATOMIC_RETURN scope:SCOPE_SYS
	s_wait_loadcnt 0x0
	v_cmp_eq_u64_e32 vcc_lo, v[6:7], v[8:9]
	v_mov_b64_e32 v[8:9], v[6:7]
	s_or_b32 s9, vcc_lo, s9
	s_delay_alu instid0(SALU_CYCLE_1)
	s_and_not1_b32 exec_lo, exec_lo, s9
	s_cbranch_execnz .LBB0_318
.LBB0_319:
	s_or_b32 exec_lo, exec_lo, s8
	v_mov_b32_e32 v9, 0
	s_mov_b32 s9, exec_lo
	s_mov_b32 s8, exec_lo
	v_mbcnt_lo_u32_b32 v8, s9, 0
	global_load_b64 v[6:7], v9, s[2:3] offset:16
	s_wait_xcnt 0x0
	v_cmpx_eq_u32_e32 0, v8
	s_cbranch_execz .LBB0_321
; %bb.320:
	s_bcnt1_i32_b32 s9, s9
	s_delay_alu instid0(SALU_CYCLE_1)
	v_mov_b32_e32 v8, s9
	global_wb scope:SCOPE_SYS
	s_wait_loadcnt 0x0
	s_wait_storecnt 0x0
	global_atomic_add_u64 v[6:7], v[8:9], off offset:8 scope:SCOPE_SYS
.LBB0_321:
	s_wait_xcnt 0x0
	s_or_b32 exec_lo, exec_lo, s8
	s_wait_loadcnt 0x0
	global_load_b64 v[8:9], v[6:7], off offset:16
	s_wait_loadcnt 0x0
	v_cmp_eq_u64_e32 vcc_lo, 0, v[8:9]
	s_cbranch_vccnz .LBB0_323
; %bb.322:
	global_load_b32 v6, v[6:7], off offset:24
	s_wait_xcnt 0x0
	v_mov_b32_e32 v7, 0
	s_wait_loadcnt 0x0
	v_readfirstlane_b32 s8, v6
	global_wb scope:SCOPE_SYS
	s_wait_storecnt 0x0
	global_store_b64 v[8:9], v[6:7], off scope:SCOPE_SYS
	s_and_b32 m0, s8, 0xffffff
	s_sendmsg sendmsg(MSG_INTERRUPT)
.LBB0_323:
	s_wait_xcnt 0x0
	s_or_b32 exec_lo, exec_lo, s1
	v_add_nc_u64_e32 v[6:7], v[12:13], v[4:5]
	s_branch .LBB0_327
.LBB0_324:                              ;   in Loop: Header=BB0_327 Depth=1
	s_wait_xcnt 0x0
	s_or_b32 exec_lo, exec_lo, s1
	s_delay_alu instid0(VALU_DEP_1)
	v_readfirstlane_b32 s1, v5
	s_cmp_eq_u32 s1, 0
	s_cbranch_scc1 .LBB0_326
; %bb.325:                              ;   in Loop: Header=BB0_327 Depth=1
	s_sleep 1
	s_cbranch_execnz .LBB0_327
	s_branch .LBB0_329
.LBB0_326:
	s_branch .LBB0_329
.LBB0_327:                              ; =>This Inner Loop Header: Depth=1
	v_mov_b32_e32 v5, 1
	s_and_saveexec_b32 s1, s0
	s_cbranch_execz .LBB0_324
; %bb.328:                              ;   in Loop: Header=BB0_327 Depth=1
	global_load_b32 v5, v[0:1], off offset:20 scope:SCOPE_SYS
	s_wait_loadcnt 0x0
	global_inv scope:SCOPE_SYS
	v_and_b32_e32 v5, 1, v5
	s_branch .LBB0_324
.LBB0_329:
	global_load_b64 v[8:9], v[6:7], off
	s_wait_xcnt 0x0
	s_and_saveexec_b32 s8, s0
	s_cbranch_execz .LBB0_333
; %bb.330:
	v_mov_b32_e32 v5, 0
	s_clause 0x2
	global_load_b64 v[0:1], v5, s[2:3] offset:40
	global_load_b64 v[14:15], v5, s[2:3] offset:24 scope:SCOPE_SYS
	global_load_b64 v[6:7], v5, s[2:3]
	s_wait_loadcnt 0x2
	v_readfirstlane_b32 s10, v0
	v_readfirstlane_b32 s11, v1
	s_add_nc_u64 s[0:1], s[10:11], 1
	s_delay_alu instid0(SALU_CYCLE_1) | instskip(NEXT) | instid1(SALU_CYCLE_1)
	s_add_nc_u64 s[6:7], s[0:1], s[6:7]
	s_cmp_eq_u64 s[6:7], 0
	s_cselect_b32 s1, s1, s7
	s_cselect_b32 s0, s0, s6
	v_mov_b32_e32 v13, s1
	s_and_b64 s[6:7], s[0:1], s[10:11]
	v_mov_b32_e32 v12, s0
	s_mul_u64 s[6:7], s[6:7], 24
	s_wait_loadcnt 0x0
	v_add_nc_u64_e32 v[0:1], s[6:7], v[6:7]
	global_store_b64 v[0:1], v[14:15], off
	global_wb scope:SCOPE_SYS
	s_wait_storecnt 0x0
	s_wait_xcnt 0x0
	global_atomic_cmpswap_b64 v[12:13], v5, v[12:15], s[2:3] offset:24 th:TH_ATOMIC_RETURN scope:SCOPE_SYS
	s_wait_loadcnt 0x0
	v_cmp_ne_u64_e32 vcc_lo, v[12:13], v[14:15]
	s_and_b32 exec_lo, exec_lo, vcc_lo
	s_cbranch_execz .LBB0_333
; %bb.331:
	s_mov_b32 s6, 0
.LBB0_332:                              ; =>This Inner Loop Header: Depth=1
	v_dual_mov_b32 v10, s0 :: v_dual_mov_b32 v11, s1
	s_sleep 1
	global_store_b64 v[0:1], v[12:13], off
	global_wb scope:SCOPE_SYS
	s_wait_storecnt 0x0
	s_wait_xcnt 0x0
	global_atomic_cmpswap_b64 v[6:7], v5, v[10:13], s[2:3] offset:24 th:TH_ATOMIC_RETURN scope:SCOPE_SYS
	s_wait_loadcnt 0x0
	v_cmp_eq_u64_e32 vcc_lo, v[6:7], v[12:13]
	v_mov_b64_e32 v[12:13], v[6:7]
	s_or_b32 s6, vcc_lo, s6
	s_delay_alu instid0(SALU_CYCLE_1)
	s_and_not1_b32 exec_lo, exec_lo, s6
	s_cbranch_execnz .LBB0_332
.LBB0_333:
	s_or_b32 exec_lo, exec_lo, s8
.LBB0_334:
	v_readfirstlane_b32 s0, v3
	v_mov_b64_e32 v[0:1], 0
	s_delay_alu instid0(VALU_DEP_2)
	v_cmp_eq_u32_e64 s0, s0, v3
	s_and_saveexec_b32 s1, s0
	s_cbranch_execz .LBB0_340
; %bb.335:
	v_mov_b32_e32 v5, 0
	s_mov_b32 s6, exec_lo
	global_load_b64 v[12:13], v5, s[2:3] offset:24 scope:SCOPE_SYS
	s_wait_loadcnt 0x0
	global_inv scope:SCOPE_SYS
	s_clause 0x1
	global_load_b64 v[0:1], v5, s[2:3] offset:40
	global_load_b64 v[6:7], v5, s[2:3]
	s_wait_loadcnt 0x1
	v_and_b32_e32 v0, v0, v12
	v_and_b32_e32 v1, v1, v13
	s_delay_alu instid0(VALU_DEP_1) | instskip(SKIP_1) | instid1(VALU_DEP_1)
	v_mul_u64_e32 v[0:1], 24, v[0:1]
	s_wait_loadcnt 0x0
	v_add_nc_u64_e32 v[0:1], v[6:7], v[0:1]
	global_load_b64 v[10:11], v[0:1], off scope:SCOPE_SYS
	s_wait_xcnt 0x0
	s_wait_loadcnt 0x0
	global_atomic_cmpswap_b64 v[0:1], v5, v[10:13], s[2:3] offset:24 th:TH_ATOMIC_RETURN scope:SCOPE_SYS
	s_wait_loadcnt 0x0
	global_inv scope:SCOPE_SYS
	s_wait_xcnt 0x0
	v_cmpx_ne_u64_e64 v[0:1], v[12:13]
	s_cbranch_execz .LBB0_339
; %bb.336:
	s_mov_b32 s7, 0
.LBB0_337:                              ; =>This Inner Loop Header: Depth=1
	s_sleep 1
	s_clause 0x1
	global_load_b64 v[6:7], v5, s[2:3] offset:40
	global_load_b64 v[10:11], v5, s[2:3]
	v_mov_b64_e32 v[12:13], v[0:1]
	s_wait_loadcnt 0x1
	s_delay_alu instid0(VALU_DEP_1) | instskip(NEXT) | instid1(VALU_DEP_2)
	v_and_b32_e32 v0, v6, v12
	v_and_b32_e32 v6, v7, v13
	s_wait_loadcnt 0x0
	s_delay_alu instid0(VALU_DEP_2) | instskip(NEXT) | instid1(VALU_DEP_1)
	v_mad_nc_u64_u32 v[0:1], v0, 24, v[10:11]
	v_mad_u32 v1, v6, 24, v1
	global_load_b64 v[10:11], v[0:1], off scope:SCOPE_SYS
	s_wait_xcnt 0x0
	s_wait_loadcnt 0x0
	global_atomic_cmpswap_b64 v[0:1], v5, v[10:13], s[2:3] offset:24 th:TH_ATOMIC_RETURN scope:SCOPE_SYS
	s_wait_loadcnt 0x0
	global_inv scope:SCOPE_SYS
	v_cmp_eq_u64_e32 vcc_lo, v[0:1], v[12:13]
	s_or_b32 s7, vcc_lo, s7
	s_wait_xcnt 0x0
	s_and_not1_b32 exec_lo, exec_lo, s7
	s_cbranch_execnz .LBB0_337
; %bb.338:
	s_or_b32 exec_lo, exec_lo, s7
.LBB0_339:
	s_delay_alu instid0(SALU_CYCLE_1)
	s_or_b32 exec_lo, exec_lo, s6
.LBB0_340:
	s_delay_alu instid0(SALU_CYCLE_1)
	s_or_b32 exec_lo, exec_lo, s1
	v_readfirstlane_b32 s6, v0
	v_mov_b32_e32 v5, 0
	v_readfirstlane_b32 s7, v1
	s_mov_b32 s1, exec_lo
	s_wait_loadcnt 0x0
	s_clause 0x1
	global_load_b64 v[6:7], v5, s[2:3] offset:40
	global_load_b128 v[12:15], v5, s[2:3]
	s_wait_loadcnt 0x1
	v_and_b32_e32 v6, s6, v6
	v_and_b32_e32 v7, s7, v7
	s_delay_alu instid0(VALU_DEP_1) | instskip(SKIP_1) | instid1(VALU_DEP_1)
	v_mul_u64_e32 v[0:1], 24, v[6:7]
	s_wait_loadcnt 0x0
	v_add_nc_u64_e32 v[0:1], v[12:13], v[0:1]
	s_wait_xcnt 0x0
	s_and_saveexec_b32 s8, s0
	s_cbranch_execz .LBB0_342
; %bb.341:
	v_mov_b64_e32 v[18:19], 0x100000002
	v_dual_mov_b32 v16, s1 :: v_dual_mov_b32 v17, v5
	global_store_b128 v[0:1], v[16:19], off offset:8
.LBB0_342:
	s_wait_xcnt 0x0
	s_or_b32 exec_lo, exec_lo, s8
	v_lshlrev_b64_e32 v[6:7], 12, v[6:7]
	s_mov_b32 s8, 0
	v_and_or_b32 v8, 0xffffff1f, v8, 32
	s_mov_b32 s10, s8
	s_mov_b32 s11, s8
	;; [unrolled: 1-line block ×3, first 2 shown]
	v_mov_b64_e32 v[18:19], s[10:11]
	v_add_nc_u64_e32 v[14:15], v[14:15], v[6:7]
	v_mov_b64_e32 v[16:17], s[8:9]
	v_dual_mov_b32 v10, 1 :: v_dual_mov_b32 v11, v5
	s_delay_alu instid0(VALU_DEP_3) | instskip(NEXT) | instid1(VALU_DEP_4)
	v_readfirstlane_b32 s12, v14
	v_readfirstlane_b32 s13, v15
	s_clause 0x3
	global_store_b128 v4, v[8:11], s[12:13]
	global_store_b128 v4, v[16:19], s[12:13] offset:16
	global_store_b128 v4, v[16:19], s[12:13] offset:32
	;; [unrolled: 1-line block ×3, first 2 shown]
	s_wait_xcnt 0x0
	s_and_saveexec_b32 s1, s0
	s_cbranch_execz .LBB0_350
; %bb.343:
	v_dual_mov_b32 v16, 0 :: v_dual_mov_b32 v19, s7
	s_mov_b32 s8, exec_lo
	s_clause 0x1
	global_load_b64 v[20:21], v16, s[2:3] offset:32 scope:SCOPE_SYS
	global_load_b64 v[6:7], v16, s[2:3] offset:40
	s_wait_loadcnt 0x0
	v_dual_mov_b32 v18, s6 :: v_dual_bitop2_b32 v7, s7, v7 bitop3:0x40
	v_and_b32_e32 v6, s6, v6
	s_delay_alu instid0(VALU_DEP_1) | instskip(NEXT) | instid1(VALU_DEP_1)
	v_mul_u64_e32 v[6:7], 24, v[6:7]
	v_add_nc_u64_e32 v[10:11], v[12:13], v[6:7]
	global_store_b64 v[10:11], v[20:21], off
	global_wb scope:SCOPE_SYS
	s_wait_storecnt 0x0
	s_wait_xcnt 0x0
	global_atomic_cmpswap_b64 v[8:9], v16, v[18:21], s[2:3] offset:32 th:TH_ATOMIC_RETURN scope:SCOPE_SYS
	s_wait_loadcnt 0x0
	v_cmpx_ne_u64_e64 v[8:9], v[20:21]
	s_cbranch_execz .LBB0_346
; %bb.344:
	s_mov_b32 s9, 0
.LBB0_345:                              ; =>This Inner Loop Header: Depth=1
	v_dual_mov_b32 v6, s6 :: v_dual_mov_b32 v7, s7
	s_sleep 1
	global_store_b64 v[10:11], v[8:9], off
	global_wb scope:SCOPE_SYS
	s_wait_storecnt 0x0
	s_wait_xcnt 0x0
	global_atomic_cmpswap_b64 v[6:7], v16, v[6:9], s[2:3] offset:32 th:TH_ATOMIC_RETURN scope:SCOPE_SYS
	s_wait_loadcnt 0x0
	v_cmp_eq_u64_e32 vcc_lo, v[6:7], v[8:9]
	v_mov_b64_e32 v[8:9], v[6:7]
	s_or_b32 s9, vcc_lo, s9
	s_delay_alu instid0(SALU_CYCLE_1)
	s_and_not1_b32 exec_lo, exec_lo, s9
	s_cbranch_execnz .LBB0_345
.LBB0_346:
	s_or_b32 exec_lo, exec_lo, s8
	v_mov_b32_e32 v9, 0
	s_mov_b32 s9, exec_lo
	s_mov_b32 s8, exec_lo
	v_mbcnt_lo_u32_b32 v8, s9, 0
	global_load_b64 v[6:7], v9, s[2:3] offset:16
	s_wait_xcnt 0x0
	v_cmpx_eq_u32_e32 0, v8
	s_cbranch_execz .LBB0_348
; %bb.347:
	s_bcnt1_i32_b32 s9, s9
	s_delay_alu instid0(SALU_CYCLE_1)
	v_mov_b32_e32 v8, s9
	global_wb scope:SCOPE_SYS
	s_wait_loadcnt 0x0
	s_wait_storecnt 0x0
	global_atomic_add_u64 v[6:7], v[8:9], off offset:8 scope:SCOPE_SYS
.LBB0_348:
	s_wait_xcnt 0x0
	s_or_b32 exec_lo, exec_lo, s8
	s_wait_loadcnt 0x0
	global_load_b64 v[8:9], v[6:7], off offset:16
	s_wait_loadcnt 0x0
	v_cmp_eq_u64_e32 vcc_lo, 0, v[8:9]
	s_cbranch_vccnz .LBB0_350
; %bb.349:
	global_load_b32 v6, v[6:7], off offset:24
	s_wait_xcnt 0x0
	v_mov_b32_e32 v7, 0
	s_wait_loadcnt 0x0
	v_readfirstlane_b32 s8, v6
	global_wb scope:SCOPE_SYS
	s_wait_storecnt 0x0
	global_store_b64 v[8:9], v[6:7], off scope:SCOPE_SYS
	s_and_b32 m0, s8, 0xffffff
	s_sendmsg sendmsg(MSG_INTERRUPT)
.LBB0_350:
	s_wait_xcnt 0x0
	s_or_b32 exec_lo, exec_lo, s1
	v_add_nc_u64_e32 v[6:7], v[14:15], v[4:5]
	s_branch .LBB0_354
.LBB0_351:                              ;   in Loop: Header=BB0_354 Depth=1
	s_wait_xcnt 0x0
	s_or_b32 exec_lo, exec_lo, s1
	s_delay_alu instid0(VALU_DEP_1)
	v_readfirstlane_b32 s1, v5
	s_cmp_eq_u32 s1, 0
	s_cbranch_scc1 .LBB0_353
; %bb.352:                              ;   in Loop: Header=BB0_354 Depth=1
	s_sleep 1
	s_cbranch_execnz .LBB0_354
	s_branch .LBB0_356
.LBB0_353:
	s_branch .LBB0_356
.LBB0_354:                              ; =>This Inner Loop Header: Depth=1
	v_mov_b32_e32 v5, 1
	s_and_saveexec_b32 s1, s0
	s_cbranch_execz .LBB0_351
; %bb.355:                              ;   in Loop: Header=BB0_354 Depth=1
	global_load_b32 v5, v[0:1], off offset:20 scope:SCOPE_SYS
	s_wait_loadcnt 0x0
	global_inv scope:SCOPE_SYS
	v_and_b32_e32 v5, 1, v5
	s_branch .LBB0_351
.LBB0_356:
	global_load_b64 v[0:1], v[6:7], off
	s_wait_xcnt 0x0
	s_and_saveexec_b32 s8, s0
	s_cbranch_execz .LBB0_360
; %bb.357:
	v_mov_b32_e32 v5, 0
	s_clause 0x2
	global_load_b64 v[6:7], v5, s[2:3] offset:40
	global_load_b64 v[14:15], v5, s[2:3] offset:24 scope:SCOPE_SYS
	global_load_b64 v[8:9], v5, s[2:3]
	s_wait_loadcnt 0x2
	v_readfirstlane_b32 s10, v6
	v_readfirstlane_b32 s11, v7
	s_add_nc_u64 s[0:1], s[10:11], 1
	s_delay_alu instid0(SALU_CYCLE_1) | instskip(NEXT) | instid1(SALU_CYCLE_1)
	s_add_nc_u64 s[6:7], s[0:1], s[6:7]
	s_cmp_eq_u64 s[6:7], 0
	s_cselect_b32 s1, s1, s7
	s_cselect_b32 s0, s0, s6
	v_mov_b32_e32 v13, s1
	s_and_b64 s[6:7], s[0:1], s[10:11]
	v_mov_b32_e32 v12, s0
	s_mul_u64 s[6:7], s[6:7], 24
	s_wait_loadcnt 0x0
	v_add_nc_u64_e32 v[10:11], s[6:7], v[8:9]
	global_store_b64 v[10:11], v[14:15], off
	global_wb scope:SCOPE_SYS
	s_wait_storecnt 0x0
	s_wait_xcnt 0x0
	global_atomic_cmpswap_b64 v[8:9], v5, v[12:15], s[2:3] offset:24 th:TH_ATOMIC_RETURN scope:SCOPE_SYS
	s_wait_loadcnt 0x0
	v_cmp_ne_u64_e32 vcc_lo, v[8:9], v[14:15]
	s_and_b32 exec_lo, exec_lo, vcc_lo
	s_cbranch_execz .LBB0_360
; %bb.358:
	s_mov_b32 s6, 0
.LBB0_359:                              ; =>This Inner Loop Header: Depth=1
	v_dual_mov_b32 v6, s0 :: v_dual_mov_b32 v7, s1
	s_sleep 1
	global_store_b64 v[10:11], v[8:9], off
	global_wb scope:SCOPE_SYS
	s_wait_storecnt 0x0
	s_wait_xcnt 0x0
	global_atomic_cmpswap_b64 v[6:7], v5, v[6:9], s[2:3] offset:24 th:TH_ATOMIC_RETURN scope:SCOPE_SYS
	s_wait_loadcnt 0x0
	v_cmp_eq_u64_e32 vcc_lo, v[6:7], v[8:9]
	v_mov_b64_e32 v[8:9], v[6:7]
	s_or_b32 s6, vcc_lo, s6
	s_delay_alu instid0(SALU_CYCLE_1)
	s_and_not1_b32 exec_lo, exec_lo, s6
	s_cbranch_execnz .LBB0_359
.LBB0_360:
	s_or_b32 exec_lo, exec_lo, s8
	v_readfirstlane_b32 s0, v3
	v_mov_b64_e32 v[10:11], 0
	s_delay_alu instid0(VALU_DEP_2)
	v_cmp_eq_u32_e64 s0, s0, v3
	s_and_saveexec_b32 s1, s0
	s_cbranch_execz .LBB0_366
; %bb.361:
	v_mov_b32_e32 v3, 0
	s_mov_b32 s6, exec_lo
	global_load_b64 v[8:9], v3, s[2:3] offset:24 scope:SCOPE_SYS
	s_wait_loadcnt 0x0
	global_inv scope:SCOPE_SYS
	s_clause 0x1
	global_load_b64 v[6:7], v3, s[2:3] offset:40
	global_load_b64 v[10:11], v3, s[2:3]
	s_wait_loadcnt 0x1
	v_and_b32_e32 v6, v6, v8
	v_and_b32_e32 v7, v7, v9
	s_delay_alu instid0(VALU_DEP_1) | instskip(SKIP_1) | instid1(VALU_DEP_1)
	v_mul_u64_e32 v[6:7], 24, v[6:7]
	s_wait_loadcnt 0x0
	v_add_nc_u64_e32 v[6:7], v[10:11], v[6:7]
	global_load_b64 v[6:7], v[6:7], off scope:SCOPE_SYS
	s_wait_xcnt 0x0
	s_wait_loadcnt 0x0
	global_atomic_cmpswap_b64 v[10:11], v3, v[6:9], s[2:3] offset:24 th:TH_ATOMIC_RETURN scope:SCOPE_SYS
	s_wait_loadcnt 0x0
	global_inv scope:SCOPE_SYS
	s_wait_xcnt 0x0
	v_cmpx_ne_u64_e64 v[10:11], v[8:9]
	s_cbranch_execz .LBB0_365
; %bb.362:
	s_mov_b32 s7, 0
.LBB0_363:                              ; =>This Inner Loop Header: Depth=1
	s_sleep 1
	s_clause 0x1
	global_load_b64 v[6:7], v3, s[2:3] offset:40
	global_load_b64 v[12:13], v3, s[2:3]
	v_mov_b64_e32 v[8:9], v[10:11]
	s_wait_loadcnt 0x1
	s_delay_alu instid0(VALU_DEP_1) | instskip(SKIP_1) | instid1(VALU_DEP_1)
	v_and_b32_e32 v5, v6, v8
	s_wait_loadcnt 0x0
	v_mad_nc_u64_u32 v[10:11], v5, 24, v[12:13]
	s_delay_alu instid0(VALU_DEP_3) | instskip(NEXT) | instid1(VALU_DEP_1)
	v_and_b32_e32 v5, v7, v9
	v_mad_u32 v11, v5, 24, v11
	global_load_b64 v[6:7], v[10:11], off scope:SCOPE_SYS
	s_wait_xcnt 0x0
	s_wait_loadcnt 0x0
	global_atomic_cmpswap_b64 v[10:11], v3, v[6:9], s[2:3] offset:24 th:TH_ATOMIC_RETURN scope:SCOPE_SYS
	s_wait_loadcnt 0x0
	global_inv scope:SCOPE_SYS
	v_cmp_eq_u64_e32 vcc_lo, v[10:11], v[8:9]
	s_or_b32 s7, vcc_lo, s7
	s_wait_xcnt 0x0
	s_and_not1_b32 exec_lo, exec_lo, s7
	s_cbranch_execnz .LBB0_363
; %bb.364:
	s_or_b32 exec_lo, exec_lo, s7
.LBB0_365:
	s_delay_alu instid0(SALU_CYCLE_1)
	s_or_b32 exec_lo, exec_lo, s6
.LBB0_366:
	s_delay_alu instid0(SALU_CYCLE_1)
	s_or_b32 exec_lo, exec_lo, s1
	v_readfirstlane_b32 s6, v10
	v_mov_b32_e32 v3, 0
	v_readfirstlane_b32 s7, v11
	s_mov_b32 s1, exec_lo
	s_clause 0x1
	global_load_b64 v[12:13], v3, s[2:3] offset:40
	global_load_b128 v[6:9], v3, s[2:3]
	s_wait_loadcnt 0x1
	v_and_b32_e32 v12, s6, v12
	v_and_b32_e32 v13, s7, v13
	s_delay_alu instid0(VALU_DEP_1) | instskip(SKIP_1) | instid1(VALU_DEP_1)
	v_mul_u64_e32 v[10:11], 24, v[12:13]
	s_wait_loadcnt 0x0
	v_add_nc_u64_e32 v[10:11], v[6:7], v[10:11]
	s_wait_xcnt 0x0
	s_and_saveexec_b32 s8, s0
	s_cbranch_execz .LBB0_368
; %bb.367:
	v_mov_b64_e32 v[16:17], 0x100000002
	v_dual_mov_b32 v14, s1 :: v_dual_mov_b32 v15, v3
	global_store_b128 v[10:11], v[14:17], off offset:8
.LBB0_368:
	s_wait_xcnt 0x0
	s_or_b32 exec_lo, exec_lo, s8
	v_lshlrev_b64_e32 v[12:13], 12, v[12:13]
	s_mov_b32 s8, 0
	v_and_or_b32 v0, 0xffffff1d, v0, 34
	s_mov_b32 s10, s8
	s_mov_b32 s11, s8
	;; [unrolled: 1-line block ×3, first 2 shown]
	s_delay_alu instid0(VALU_DEP_2) | instskip(SKIP_2) | instid1(VALU_DEP_3)
	v_add_nc_u64_e32 v[8:9], v[8:9], v[12:13]
	v_mov_b64_e32 v[14:15], s[10:11]
	v_mov_b64_e32 v[12:13], s[8:9]
	v_readfirstlane_b32 s12, v8
	s_delay_alu instid0(VALU_DEP_4)
	v_readfirstlane_b32 s13, v9
	s_wait_dscnt 0x0
	s_clause 0x3
	global_store_b128 v4, v[0:3], s[12:13]
	global_store_b128 v4, v[12:15], s[12:13] offset:16
	global_store_b128 v4, v[12:15], s[12:13] offset:32
	;; [unrolled: 1-line block ×3, first 2 shown]
	s_wait_xcnt 0x0
	s_and_saveexec_b32 s1, s0
	s_cbranch_execz .LBB0_376
; %bb.369:
	v_mov_b32_e32 v3, 0
	s_mov_b32 s8, exec_lo
	s_clause 0x1
	global_load_b64 v[8:9], v3, s[2:3] offset:32 scope:SCOPE_SYS
	global_load_b64 v[0:1], v3, s[2:3] offset:40
	s_wait_loadcnt 0x0
	v_and_b32_e32 v0, s6, v0
	v_and_b32_e32 v1, s7, v1
	s_delay_alu instid0(VALU_DEP_1) | instskip(NEXT) | instid1(VALU_DEP_1)
	v_mul_u64_e32 v[0:1], 24, v[0:1]
	v_add_nc_u64_e32 v[0:1], v[6:7], v[0:1]
	v_dual_mov_b32 v6, s6 :: v_dual_mov_b32 v7, s7
	global_store_b64 v[0:1], v[8:9], off
	global_wb scope:SCOPE_SYS
	s_wait_storecnt 0x0
	s_wait_xcnt 0x0
	global_atomic_cmpswap_b64 v[6:7], v3, v[6:9], s[2:3] offset:32 th:TH_ATOMIC_RETURN scope:SCOPE_SYS
	s_wait_loadcnt 0x0
	v_cmpx_ne_u64_e64 v[6:7], v[8:9]
	s_cbranch_execz .LBB0_372
; %bb.370:
	s_mov_b32 s9, 0
.LBB0_371:                              ; =>This Inner Loop Header: Depth=1
	v_dual_mov_b32 v4, s6 :: v_dual_mov_b32 v5, s7
	s_sleep 1
	global_store_b64 v[0:1], v[6:7], off
	global_wb scope:SCOPE_SYS
	s_wait_storecnt 0x0
	s_wait_xcnt 0x0
	global_atomic_cmpswap_b64 v[4:5], v3, v[4:7], s[2:3] offset:32 th:TH_ATOMIC_RETURN scope:SCOPE_SYS
	s_wait_loadcnt 0x0
	v_cmp_eq_u64_e32 vcc_lo, v[4:5], v[6:7]
	v_mov_b64_e32 v[6:7], v[4:5]
	s_or_b32 s9, vcc_lo, s9
	s_delay_alu instid0(SALU_CYCLE_1)
	s_and_not1_b32 exec_lo, exec_lo, s9
	s_cbranch_execnz .LBB0_371
.LBB0_372:
	s_or_b32 exec_lo, exec_lo, s8
	v_mov_b32_e32 v5, 0
	s_mov_b32 s9, exec_lo
	s_mov_b32 s8, exec_lo
	v_mbcnt_lo_u32_b32 v3, s9, 0
	global_load_b64 v[0:1], v5, s[2:3] offset:16
	s_wait_xcnt 0x0
	v_cmpx_eq_u32_e32 0, v3
	s_cbranch_execz .LBB0_374
; %bb.373:
	s_bcnt1_i32_b32 s9, s9
	s_delay_alu instid0(SALU_CYCLE_1)
	v_mov_b32_e32 v4, s9
	global_wb scope:SCOPE_SYS
	s_wait_loadcnt 0x0
	s_wait_storecnt 0x0
	global_atomic_add_u64 v[0:1], v[4:5], off offset:8 scope:SCOPE_SYS
.LBB0_374:
	s_wait_xcnt 0x0
	s_or_b32 exec_lo, exec_lo, s8
	s_wait_loadcnt 0x0
	global_load_b64 v[4:5], v[0:1], off offset:16
	s_wait_loadcnt 0x0
	v_cmp_eq_u64_e32 vcc_lo, 0, v[4:5]
	s_cbranch_vccnz .LBB0_376
; %bb.375:
	global_load_b32 v0, v[0:1], off offset:24
	s_wait_xcnt 0x0
	v_mov_b32_e32 v1, 0
	s_wait_loadcnt 0x0
	v_readfirstlane_b32 s8, v0
	global_wb scope:SCOPE_SYS
	s_wait_storecnt 0x0
	global_store_b64 v[4:5], v[0:1], off scope:SCOPE_SYS
	s_and_b32 m0, s8, 0xffffff
	s_sendmsg sendmsg(MSG_INTERRUPT)
.LBB0_376:
	s_wait_xcnt 0x0
	s_or_b32 exec_lo, exec_lo, s1
	s_branch .LBB0_380
.LBB0_377:                              ;   in Loop: Header=BB0_380 Depth=1
	s_wait_xcnt 0x0
	s_or_b32 exec_lo, exec_lo, s1
	s_delay_alu instid0(VALU_DEP_1)
	v_readfirstlane_b32 s1, v0
	s_cmp_eq_u32 s1, 0
	s_cbranch_scc1 .LBB0_379
; %bb.378:                              ;   in Loop: Header=BB0_380 Depth=1
	s_sleep 1
	s_cbranch_execnz .LBB0_380
	s_branch .LBB0_382
.LBB0_379:
	s_branch .LBB0_382
.LBB0_380:                              ; =>This Inner Loop Header: Depth=1
	v_mov_b32_e32 v0, 1
	s_and_saveexec_b32 s1, s0
	s_cbranch_execz .LBB0_377
; %bb.381:                              ;   in Loop: Header=BB0_380 Depth=1
	global_load_b32 v0, v[10:11], off offset:20 scope:SCOPE_SYS
	s_wait_loadcnt 0x0
	global_inv scope:SCOPE_SYS
	v_and_b32_e32 v0, 1, v0
	s_branch .LBB0_377
.LBB0_382:
	s_and_saveexec_b32 s8, s0
	s_cbranch_execz .LBB0_386
; %bb.383:
	v_mov_b32_e32 v3, 0
	s_clause 0x2
	global_load_b64 v[0:1], v3, s[2:3] offset:40
	global_load_b64 v[8:9], v3, s[2:3] offset:24 scope:SCOPE_SYS
	global_load_b64 v[4:5], v3, s[2:3]
	s_wait_loadcnt 0x2
	v_readfirstlane_b32 s10, v0
	v_readfirstlane_b32 s11, v1
	s_add_nc_u64 s[0:1], s[10:11], 1
	s_delay_alu instid0(SALU_CYCLE_1) | instskip(NEXT) | instid1(SALU_CYCLE_1)
	s_add_nc_u64 s[6:7], s[0:1], s[6:7]
	s_cmp_eq_u64 s[6:7], 0
	s_cselect_b32 s1, s1, s7
	s_cselect_b32 s0, s0, s6
	v_mov_b32_e32 v7, s1
	s_and_b64 s[6:7], s[0:1], s[10:11]
	v_mov_b32_e32 v6, s0
	s_mul_u64 s[6:7], s[6:7], 24
	s_wait_loadcnt 0x0
	v_add_nc_u64_e32 v[0:1], s[6:7], v[4:5]
	global_store_b64 v[0:1], v[8:9], off
	global_wb scope:SCOPE_SYS
	s_wait_storecnt 0x0
	s_wait_xcnt 0x0
	global_atomic_cmpswap_b64 v[6:7], v3, v[6:9], s[2:3] offset:24 th:TH_ATOMIC_RETURN scope:SCOPE_SYS
	s_wait_loadcnt 0x0
	v_cmp_ne_u64_e32 vcc_lo, v[6:7], v[8:9]
	s_and_b32 exec_lo, exec_lo, vcc_lo
	s_cbranch_execz .LBB0_386
; %bb.384:
	s_mov_b32 s6, 0
.LBB0_385:                              ; =>This Inner Loop Header: Depth=1
	v_dual_mov_b32 v4, s0 :: v_dual_mov_b32 v5, s1
	s_sleep 1
	global_store_b64 v[0:1], v[6:7], off
	global_wb scope:SCOPE_SYS
	s_wait_storecnt 0x0
	s_wait_xcnt 0x0
	global_atomic_cmpswap_b64 v[4:5], v3, v[4:7], s[2:3] offset:24 th:TH_ATOMIC_RETURN scope:SCOPE_SYS
	s_wait_loadcnt 0x0
	v_cmp_eq_u64_e32 vcc_lo, v[4:5], v[6:7]
	v_mov_b64_e32 v[6:7], v[4:5]
	s_or_b32 s6, vcc_lo, s6
	s_delay_alu instid0(SALU_CYCLE_1)
	s_and_not1_b32 exec_lo, exec_lo, s6
	s_cbranch_execnz .LBB0_385
.LBB0_386:
	s_or_b32 exec_lo, exec_lo, s8
	v_lshrrev_b32_e32 v0, 1, v36
	global_store_b32 v0, v2, s[4:5] scale_offset
.LBB0_387:
	s_endpgm
.LBB0_388:
	s_cbranch_execz .LBB0_194
	s_branch .LBB0_195
	.section	.rodata,"a",@progbits
	.p2align	6, 0x0
	.amdhsa_kernel _ZL32kernel_cg_group_partition_staticILj2EEvPi19TiledGroupShflTests
		.amdhsa_group_segment_fixed_size 0
		.amdhsa_private_segment_fixed_size 12
		.amdhsa_kernarg_size 272
		.amdhsa_user_sgpr_count 2
		.amdhsa_user_sgpr_dispatch_ptr 0
		.amdhsa_user_sgpr_queue_ptr 0
		.amdhsa_user_sgpr_kernarg_segment_ptr 1
		.amdhsa_user_sgpr_dispatch_id 0
		.amdhsa_user_sgpr_kernarg_preload_length 0
		.amdhsa_user_sgpr_kernarg_preload_offset 0
		.amdhsa_user_sgpr_private_segment_size 0
		.amdhsa_wavefront_size32 1
		.amdhsa_uses_dynamic_stack 0
		.amdhsa_enable_private_segment 1
		.amdhsa_system_sgpr_workgroup_id_x 1
		.amdhsa_system_sgpr_workgroup_id_y 0
		.amdhsa_system_sgpr_workgroup_id_z 0
		.amdhsa_system_sgpr_workgroup_info 0
		.amdhsa_system_vgpr_workitem_id 2
		.amdhsa_next_free_vgpr 37
		.amdhsa_next_free_sgpr 26
		.amdhsa_named_barrier_count 0
		.amdhsa_reserve_vcc 1
		.amdhsa_float_round_mode_32 0
		.amdhsa_float_round_mode_16_64 0
		.amdhsa_float_denorm_mode_32 3
		.amdhsa_float_denorm_mode_16_64 3
		.amdhsa_fp16_overflow 0
		.amdhsa_memory_ordered 1
		.amdhsa_forward_progress 1
		.amdhsa_inst_pref_size 133
		.amdhsa_round_robin_scheduling 0
		.amdhsa_exception_fp_ieee_invalid_op 0
		.amdhsa_exception_fp_denorm_src 0
		.amdhsa_exception_fp_ieee_div_zero 0
		.amdhsa_exception_fp_ieee_overflow 0
		.amdhsa_exception_fp_ieee_underflow 0
		.amdhsa_exception_fp_ieee_inexact 0
		.amdhsa_exception_int_div_zero 0
	.end_amdhsa_kernel
	.section	.text._ZL32kernel_cg_group_partition_staticILj2EEvPi19TiledGroupShflTests,"axG",@progbits,_ZL32kernel_cg_group_partition_staticILj2EEvPi19TiledGroupShflTests,comdat
.Lfunc_end0:
	.size	_ZL32kernel_cg_group_partition_staticILj2EEvPi19TiledGroupShflTests, .Lfunc_end0-_ZL32kernel_cg_group_partition_staticILj2EEvPi19TiledGroupShflTests
                                        ; -- End function
	.set _ZL32kernel_cg_group_partition_staticILj2EEvPi19TiledGroupShflTests.num_vgpr, 37
	.set _ZL32kernel_cg_group_partition_staticILj2EEvPi19TiledGroupShflTests.num_agpr, 0
	.set _ZL32kernel_cg_group_partition_staticILj2EEvPi19TiledGroupShflTests.numbered_sgpr, 26
	.set _ZL32kernel_cg_group_partition_staticILj2EEvPi19TiledGroupShflTests.num_named_barrier, 0
	.set _ZL32kernel_cg_group_partition_staticILj2EEvPi19TiledGroupShflTests.private_seg_size, 12
	.set _ZL32kernel_cg_group_partition_staticILj2EEvPi19TiledGroupShflTests.uses_vcc, 1
	.set _ZL32kernel_cg_group_partition_staticILj2EEvPi19TiledGroupShflTests.uses_flat_scratch, 0
	.set _ZL32kernel_cg_group_partition_staticILj2EEvPi19TiledGroupShflTests.has_dyn_sized_stack, 0
	.set _ZL32kernel_cg_group_partition_staticILj2EEvPi19TiledGroupShflTests.has_recursion, 0
	.set _ZL32kernel_cg_group_partition_staticILj2EEvPi19TiledGroupShflTests.has_indirect_call, 0
	.section	.AMDGPU.csdata,"",@progbits
; Kernel info:
; codeLenInByte = 17012
; TotalNumSgprs: 28
; NumVgprs: 37
; ScratchSize: 12
; MemoryBound: 0
; FloatMode: 240
; IeeeMode: 1
; LDSByteSize: 0 bytes/workgroup (compile time only)
; SGPRBlocks: 0
; VGPRBlocks: 2
; NumSGPRsForWavesPerEU: 28
; NumVGPRsForWavesPerEU: 37
; NamedBarCnt: 0
; Occupancy: 16
; WaveLimiterHint : 1
; COMPUTE_PGM_RSRC2:SCRATCH_EN: 1
; COMPUTE_PGM_RSRC2:USER_SGPR: 2
; COMPUTE_PGM_RSRC2:TRAP_HANDLER: 0
; COMPUTE_PGM_RSRC2:TGID_X_EN: 1
; COMPUTE_PGM_RSRC2:TGID_Y_EN: 0
; COMPUTE_PGM_RSRC2:TGID_Z_EN: 0
; COMPUTE_PGM_RSRC2:TIDIG_COMP_CNT: 2
	.section	.text._ZL32kernel_cg_group_partition_staticILj4EEvPi19TiledGroupShflTests,"axG",@progbits,_ZL32kernel_cg_group_partition_staticILj4EEvPi19TiledGroupShflTests,comdat
	.globl	_ZL32kernel_cg_group_partition_staticILj4EEvPi19TiledGroupShflTests ; -- Begin function _ZL32kernel_cg_group_partition_staticILj4EEvPi19TiledGroupShflTests
	.p2align	8
	.type	_ZL32kernel_cg_group_partition_staticILj4EEvPi19TiledGroupShflTests,@function
_ZL32kernel_cg_group_partition_staticILj4EEvPi19TiledGroupShflTests: ; @_ZL32kernel_cg_group_partition_staticILj4EEvPi19TiledGroupShflTests
; %bb.0:
	s_load_b32 s2, s[0:1], 0x1c
	v_bfe_u32 v1, v0, 10, 10
	v_bfe_u32 v2, v0, 20, 10
	v_and_b32_e32 v0, 0x3ff, v0
	s_add_nc_u64 s[8:9], s[0:1], 16
	s_mov_b32 s18, exec_lo
	s_wait_kmcnt 0x0
	s_lshr_b32 s19, s2, 16
	s_and_b32 s20, s2, 0xffff
	v_mad_u32_u24 v1, v2, s19, v1
	s_delay_alu instid0(VALU_DEP_1) | instskip(NEXT) | instid1(VALU_DEP_1)
	v_mad_u32 v36, v1, s20, v0
	v_cmpx_eq_u32_e32 0, v36
	s_cbranch_execz .LBB1_186
; %bb.1:
	s_clause 0x1
	s_load_b32 s21, s[8:9], 0x10
	s_load_b64 s[4:5], s[8:9], 0x50
	v_mbcnt_lo_u32_b32 v29, -1, 0
	v_mov_b64_e32 v[2:3], 0
	s_delay_alu instid0(VALU_DEP_2) | instskip(NEXT) | instid1(VALU_DEP_1)
	v_readfirstlane_b32 s2, v29
	v_cmp_eq_u32_e64 s2, s2, v29
	s_and_saveexec_b32 s3, s2
	s_cbranch_execz .LBB1_7
; %bb.2:
	v_mov_b32_e32 v0, 0
	s_mov_b32 s6, exec_lo
	s_wait_kmcnt 0x0
	global_load_b64 v[4:5], v0, s[4:5] offset:24 scope:SCOPE_SYS
	s_wait_loadcnt 0x0
	global_inv scope:SCOPE_SYS
	s_clause 0x1
	global_load_b64 v[2:3], v0, s[4:5] offset:40
	global_load_b64 v[6:7], v0, s[4:5]
	s_wait_loadcnt 0x1
	v_and_b32_e32 v2, v2, v4
	v_and_b32_e32 v3, v3, v5
	s_delay_alu instid0(VALU_DEP_1) | instskip(SKIP_1) | instid1(VALU_DEP_1)
	v_mul_u64_e32 v[2:3], 24, v[2:3]
	s_wait_loadcnt 0x0
	v_add_nc_u64_e32 v[2:3], v[6:7], v[2:3]
	global_load_b64 v[2:3], v[2:3], off scope:SCOPE_SYS
	s_wait_xcnt 0x0
	s_wait_loadcnt 0x0
	global_atomic_cmpswap_b64 v[2:3], v0, v[2:5], s[4:5] offset:24 th:TH_ATOMIC_RETURN scope:SCOPE_SYS
	s_wait_loadcnt 0x0
	global_inv scope:SCOPE_SYS
	s_wait_xcnt 0x0
	v_cmpx_ne_u64_e64 v[2:3], v[4:5]
	s_cbranch_execz .LBB1_6
; %bb.3:
	s_mov_b32 s7, 0
.LBB1_4:                                ; =>This Inner Loop Header: Depth=1
	s_sleep 1
	s_clause 0x1
	global_load_b64 v[6:7], v0, s[4:5] offset:40
	global_load_b64 v[8:9], v0, s[4:5]
	v_mov_b64_e32 v[4:5], v[2:3]
	s_wait_loadcnt 0x1
	s_delay_alu instid0(VALU_DEP_1) | instskip(SKIP_1) | instid1(VALU_DEP_1)
	v_and_b32_e32 v1, v6, v4
	s_wait_loadcnt 0x0
	v_mad_nc_u64_u32 v[2:3], v1, 24, v[8:9]
	s_delay_alu instid0(VALU_DEP_3) | instskip(NEXT) | instid1(VALU_DEP_1)
	v_and_b32_e32 v1, v7, v5
	v_mad_u32 v3, v1, 24, v3
	global_load_b64 v[2:3], v[2:3], off scope:SCOPE_SYS
	s_wait_xcnt 0x0
	s_wait_loadcnt 0x0
	global_atomic_cmpswap_b64 v[2:3], v0, v[2:5], s[4:5] offset:24 th:TH_ATOMIC_RETURN scope:SCOPE_SYS
	s_wait_loadcnt 0x0
	global_inv scope:SCOPE_SYS
	v_cmp_eq_u64_e32 vcc_lo, v[2:3], v[4:5]
	s_or_b32 s7, vcc_lo, s7
	s_wait_xcnt 0x0
	s_and_not1_b32 exec_lo, exec_lo, s7
	s_cbranch_execnz .LBB1_4
; %bb.5:
	s_or_b32 exec_lo, exec_lo, s7
.LBB1_6:
	s_delay_alu instid0(SALU_CYCLE_1)
	s_or_b32 exec_lo, exec_lo, s6
.LBB1_7:
	s_delay_alu instid0(SALU_CYCLE_1)
	s_or_b32 exec_lo, exec_lo, s3
	v_readfirstlane_b32 s6, v2
	v_mov_b32_e32 v1, 0
	v_readfirstlane_b32 s7, v3
	s_mov_b32 s3, exec_lo
	s_wait_kmcnt 0x0
	s_clause 0x1
	global_load_b64 v[8:9], v1, s[4:5] offset:40
	global_load_b128 v[4:7], v1, s[4:5]
	s_wait_loadcnt 0x1
	v_and_b32_e32 v10, s6, v8
	v_and_b32_e32 v11, s7, v9
	s_delay_alu instid0(VALU_DEP_1) | instskip(SKIP_1) | instid1(VALU_DEP_1)
	v_mul_u64_e32 v[2:3], 24, v[10:11]
	s_wait_loadcnt 0x0
	v_add_nc_u64_e32 v[8:9], v[4:5], v[2:3]
	s_and_saveexec_b32 s10, s2
	s_cbranch_execz .LBB1_9
; %bb.8:
	v_mov_b64_e32 v[2:3], 0x100000002
	v_mov_b32_e32 v0, s3
	global_store_b128 v[8:9], v[0:3], off offset:8
.LBB1_9:
	s_wait_xcnt 0x0
	s_or_b32 exec_lo, exec_lo, s10
	v_lshlrev_b64_e32 v[2:3], 12, v[10:11]
	s_mov_b32 s12, 0
	v_dual_lshlrev_b32 v0, 6, v29 :: v_dual_mov_b32 v10, 33
	s_mov_b32 s14, s12
	s_mov_b32 s15, s12
	;; [unrolled: 1-line block ×3, first 2 shown]
	s_delay_alu instid0(VALU_DEP_2)
	v_add_nc_u64_e32 v[6:7], v[6:7], v[2:3]
	v_mov_b64_e32 v[16:17], s[14:15]
	v_mov_b64_e32 v[14:15], s[12:13]
	v_dual_mov_b32 v11, v1 :: v_dual_mov_b32 v12, v1
	v_mov_b32_e32 v13, v1
	v_readfirstlane_b32 s10, v6
	v_readfirstlane_b32 s11, v7
	s_clause 0x3
	global_store_b128 v0, v[10:13], s[10:11]
	global_store_b128 v0, v[14:17], s[10:11] offset:16
	global_store_b128 v0, v[14:17], s[10:11] offset:32
	;; [unrolled: 1-line block ×3, first 2 shown]
	s_wait_xcnt 0x0
	s_and_saveexec_b32 s3, s2
	s_cbranch_execz .LBB1_17
; %bb.10:
	v_dual_mov_b32 v12, 0 :: v_dual_mov_b32 v15, s7
	s_mov_b32 s10, exec_lo
	s_clause 0x1
	global_load_b64 v[16:17], v12, s[4:5] offset:32 scope:SCOPE_SYS
	global_load_b64 v[2:3], v12, s[4:5] offset:40
	s_wait_loadcnt 0x0
	v_dual_mov_b32 v14, s6 :: v_dual_bitop2_b32 v3, s7, v3 bitop3:0x40
	v_and_b32_e32 v2, s6, v2
	s_delay_alu instid0(VALU_DEP_1) | instskip(NEXT) | instid1(VALU_DEP_1)
	v_mul_u64_e32 v[2:3], 24, v[2:3]
	v_add_nc_u64_e32 v[10:11], v[4:5], v[2:3]
	global_store_b64 v[10:11], v[16:17], off
	global_wb scope:SCOPE_SYS
	s_wait_storecnt 0x0
	s_wait_xcnt 0x0
	global_atomic_cmpswap_b64 v[4:5], v12, v[14:17], s[4:5] offset:32 th:TH_ATOMIC_RETURN scope:SCOPE_SYS
	s_wait_loadcnt 0x0
	v_cmpx_ne_u64_e64 v[4:5], v[16:17]
	s_cbranch_execz .LBB1_13
; %bb.11:
	s_mov_b32 s11, 0
.LBB1_12:                               ; =>This Inner Loop Header: Depth=1
	v_dual_mov_b32 v2, s6 :: v_dual_mov_b32 v3, s7
	s_sleep 1
	global_store_b64 v[10:11], v[4:5], off
	global_wb scope:SCOPE_SYS
	s_wait_storecnt 0x0
	s_wait_xcnt 0x0
	global_atomic_cmpswap_b64 v[2:3], v12, v[2:5], s[4:5] offset:32 th:TH_ATOMIC_RETURN scope:SCOPE_SYS
	s_wait_loadcnt 0x0
	v_cmp_eq_u64_e32 vcc_lo, v[2:3], v[4:5]
	v_mov_b64_e32 v[4:5], v[2:3]
	s_or_b32 s11, vcc_lo, s11
	s_delay_alu instid0(SALU_CYCLE_1)
	s_and_not1_b32 exec_lo, exec_lo, s11
	s_cbranch_execnz .LBB1_12
.LBB1_13:
	s_or_b32 exec_lo, exec_lo, s10
	v_mov_b32_e32 v5, 0
	s_mov_b32 s11, exec_lo
	s_mov_b32 s10, exec_lo
	v_mbcnt_lo_u32_b32 v4, s11, 0
	global_load_b64 v[2:3], v5, s[4:5] offset:16
	s_wait_xcnt 0x0
	v_cmpx_eq_u32_e32 0, v4
	s_cbranch_execz .LBB1_15
; %bb.14:
	s_bcnt1_i32_b32 s11, s11
	s_delay_alu instid0(SALU_CYCLE_1)
	v_mov_b32_e32 v4, s11
	global_wb scope:SCOPE_SYS
	s_wait_loadcnt 0x0
	s_wait_storecnt 0x0
	global_atomic_add_u64 v[2:3], v[4:5], off offset:8 scope:SCOPE_SYS
.LBB1_15:
	s_wait_xcnt 0x0
	s_or_b32 exec_lo, exec_lo, s10
	s_wait_loadcnt 0x0
	global_load_b64 v[4:5], v[2:3], off offset:16
	s_wait_loadcnt 0x0
	v_cmp_eq_u64_e32 vcc_lo, 0, v[4:5]
	s_cbranch_vccnz .LBB1_17
; %bb.16:
	global_load_b32 v2, v[2:3], off offset:24
	s_wait_xcnt 0x0
	v_mov_b32_e32 v3, 0
	s_wait_loadcnt 0x0
	v_readfirstlane_b32 s10, v2
	global_wb scope:SCOPE_SYS
	s_wait_storecnt 0x0
	global_store_b64 v[4:5], v[2:3], off scope:SCOPE_SYS
	s_and_b32 m0, s10, 0xffffff
	s_sendmsg sendmsg(MSG_INTERRUPT)
.LBB1_17:
	s_wait_xcnt 0x0
	s_or_b32 exec_lo, exec_lo, s3
	v_add_nc_u64_e32 v[2:3], v[6:7], v[0:1]
	s_branch .LBB1_21
.LBB1_18:                               ;   in Loop: Header=BB1_21 Depth=1
	s_wait_xcnt 0x0
	s_or_b32 exec_lo, exec_lo, s3
	s_delay_alu instid0(VALU_DEP_1)
	v_readfirstlane_b32 s3, v1
	s_cmp_eq_u32 s3, 0
	s_cbranch_scc1 .LBB1_20
; %bb.19:                               ;   in Loop: Header=BB1_21 Depth=1
	s_sleep 1
	s_cbranch_execnz .LBB1_21
	s_branch .LBB1_23
.LBB1_20:
	s_branch .LBB1_23
.LBB1_21:                               ; =>This Inner Loop Header: Depth=1
	v_mov_b32_e32 v1, 1
	s_and_saveexec_b32 s3, s2
	s_cbranch_execz .LBB1_18
; %bb.22:                               ;   in Loop: Header=BB1_21 Depth=1
	global_load_b32 v1, v[8:9], off offset:20 scope:SCOPE_SYS
	s_wait_loadcnt 0x0
	global_inv scope:SCOPE_SYS
	v_and_b32_e32 v1, 1, v1
	s_branch .LBB1_18
.LBB1_23:
	global_load_b64 v[2:3], v[2:3], off
	s_wait_xcnt 0x0
	s_and_saveexec_b32 s10, s2
	s_cbranch_execz .LBB1_27
; %bb.24:
	v_mov_b32_e32 v1, 0
	s_clause 0x2
	global_load_b64 v[4:5], v1, s[4:5] offset:40
	global_load_b64 v[12:13], v1, s[4:5] offset:24 scope:SCOPE_SYS
	global_load_b64 v[6:7], v1, s[4:5]
	s_wait_loadcnt 0x2
	v_readfirstlane_b32 s12, v4
	v_readfirstlane_b32 s13, v5
	s_add_nc_u64 s[2:3], s[12:13], 1
	s_delay_alu instid0(SALU_CYCLE_1) | instskip(NEXT) | instid1(SALU_CYCLE_1)
	s_add_nc_u64 s[6:7], s[2:3], s[6:7]
	s_cmp_eq_u64 s[6:7], 0
	s_cselect_b32 s3, s3, s7
	s_cselect_b32 s2, s2, s6
	v_mov_b32_e32 v11, s3
	s_and_b64 s[6:7], s[2:3], s[12:13]
	v_mov_b32_e32 v10, s2
	s_mul_u64 s[6:7], s[6:7], 24
	s_wait_loadcnt 0x0
	v_add_nc_u64_e32 v[8:9], s[6:7], v[6:7]
	global_store_b64 v[8:9], v[12:13], off
	global_wb scope:SCOPE_SYS
	s_wait_storecnt 0x0
	s_wait_xcnt 0x0
	global_atomic_cmpswap_b64 v[6:7], v1, v[10:13], s[4:5] offset:24 th:TH_ATOMIC_RETURN scope:SCOPE_SYS
	s_wait_loadcnt 0x0
	v_cmp_ne_u64_e32 vcc_lo, v[6:7], v[12:13]
	s_and_b32 exec_lo, exec_lo, vcc_lo
	s_cbranch_execz .LBB1_27
; %bb.25:
	s_mov_b32 s6, 0
.LBB1_26:                               ; =>This Inner Loop Header: Depth=1
	v_dual_mov_b32 v4, s2 :: v_dual_mov_b32 v5, s3
	s_sleep 1
	global_store_b64 v[8:9], v[6:7], off
	global_wb scope:SCOPE_SYS
	s_wait_storecnt 0x0
	s_wait_xcnt 0x0
	global_atomic_cmpswap_b64 v[4:5], v1, v[4:7], s[4:5] offset:24 th:TH_ATOMIC_RETURN scope:SCOPE_SYS
	s_wait_loadcnt 0x0
	v_cmp_eq_u64_e32 vcc_lo, v[4:5], v[6:7]
	v_mov_b64_e32 v[6:7], v[4:5]
	s_or_b32 s6, vcc_lo, s6
	s_delay_alu instid0(SALU_CYCLE_1)
	s_and_not1_b32 exec_lo, exec_lo, s6
	s_cbranch_execnz .LBB1_26
.LBB1_27:
	s_or_b32 exec_lo, exec_lo, s10
	s_get_pc_i64 s[6:7]
	s_add_nc_u64 s[6:7], s[6:7], .str@rel64+4
	s_delay_alu instid0(SALU_CYCLE_1)
	s_cmp_lg_u64 s[6:7], 0
	s_cbranch_scc0 .LBB1_106
; %bb.28:
	v_mov_b64_e32 v[10:11], 0x100000002
	s_wait_loadcnt 0x0
	v_dual_mov_b32 v9, 0 :: v_dual_bitop2_b32 v28, 2, v2 bitop3:0x40
	v_dual_mov_b32 v5, v3 :: v_dual_bitop2_b32 v4, -3, v2 bitop3:0x40
	s_mov_b64 s[10:11], 48
	s_branch .LBB1_30
.LBB1_29:                               ;   in Loop: Header=BB1_30 Depth=1
	s_or_b32 exec_lo, exec_lo, s16
	s_sub_nc_u64 s[10:11], s[10:11], s[12:13]
	s_add_nc_u64 s[6:7], s[6:7], s[12:13]
	s_cmp_lg_u64 s[10:11], 0
	s_cbranch_scc0 .LBB1_105
.LBB1_30:                               ; =>This Loop Header: Depth=1
                                        ;     Child Loop BB1_33 Depth 2
                                        ;     Child Loop BB1_40 Depth 2
                                        ;     Child Loop BB1_47 Depth 2
                                        ;     Child Loop BB1_54 Depth 2
                                        ;     Child Loop BB1_61 Depth 2
                                        ;     Child Loop BB1_68 Depth 2
                                        ;     Child Loop BB1_75 Depth 2
                                        ;     Child Loop BB1_82 Depth 2
                                        ;     Child Loop BB1_90 Depth 2
                                        ;     Child Loop BB1_99 Depth 2
                                        ;     Child Loop BB1_104 Depth 2
	v_min_u64 v[6:7], s[10:11], 56
	v_cmp_gt_u64_e64 s2, s[10:11], 7
	s_and_b32 vcc_lo, exec_lo, s2
	v_readfirstlane_b32 s12, v6
	v_readfirstlane_b32 s13, v7
	s_cbranch_vccnz .LBB1_35
; %bb.31:                               ;   in Loop: Header=BB1_30 Depth=1
	v_mov_b64_e32 v[6:7], 0
	s_cmp_eq_u64 s[10:11], 0
	s_cbranch_scc1 .LBB1_34
; %bb.32:                               ;   in Loop: Header=BB1_30 Depth=1
	s_mov_b64 s[2:3], 0
	s_mov_b64 s[14:15], 0
.LBB1_33:                               ;   Parent Loop BB1_30 Depth=1
                                        ; =>  This Inner Loop Header: Depth=2
	s_wait_xcnt 0x0
	s_add_nc_u64 s[16:17], s[6:7], s[14:15]
	s_add_nc_u64 s[14:15], s[14:15], 1
	global_load_u8 v1, v9, s[16:17]
	s_cmp_lg_u32 s12, s14
	s_wait_loadcnt 0x0
	v_and_b32_e32 v8, 0xffff, v1
	s_delay_alu instid0(VALU_DEP_1) | instskip(SKIP_1) | instid1(VALU_DEP_1)
	v_lshlrev_b64_e32 v[12:13], s2, v[8:9]
	s_add_nc_u64 s[2:3], s[2:3], 8
	v_or_b32_e32 v6, v12, v6
	s_delay_alu instid0(VALU_DEP_2)
	v_or_b32_e32 v7, v13, v7
	s_cbranch_scc1 .LBB1_33
.LBB1_34:                               ;   in Loop: Header=BB1_30 Depth=1
	s_mov_b64 s[14:15], s[6:7]
	s_mov_b32 s22, 0
	s_cbranch_execz .LBB1_36
	s_branch .LBB1_37
.LBB1_35:                               ;   in Loop: Header=BB1_30 Depth=1
	s_add_nc_u64 s[14:15], s[6:7], 8
	s_mov_b32 s22, 0
.LBB1_36:                               ;   in Loop: Header=BB1_30 Depth=1
	global_load_b64 v[6:7], v9, s[6:7]
	s_add_co_i32 s22, s12, -8
.LBB1_37:                               ;   in Loop: Header=BB1_30 Depth=1
	s_delay_alu instid0(SALU_CYCLE_1)
	s_cmp_gt_u32 s22, 7
	s_cbranch_scc1 .LBB1_42
; %bb.38:                               ;   in Loop: Header=BB1_30 Depth=1
	v_mov_b64_e32 v[12:13], 0
	s_cmp_eq_u32 s22, 0
	s_cbranch_scc1 .LBB1_41
; %bb.39:                               ;   in Loop: Header=BB1_30 Depth=1
	s_mov_b64 s[2:3], 0
	s_wait_xcnt 0x0
	s_mov_b64 s[16:17], 0
.LBB1_40:                               ;   Parent Loop BB1_30 Depth=1
                                        ; =>  This Inner Loop Header: Depth=2
	s_wait_xcnt 0x0
	s_add_nc_u64 s[24:25], s[14:15], s[16:17]
	s_add_nc_u64 s[16:17], s[16:17], 1
	global_load_u8 v1, v9, s[24:25]
	s_cmp_lg_u32 s22, s16
	s_wait_loadcnt 0x0
	v_and_b32_e32 v8, 0xffff, v1
	s_delay_alu instid0(VALU_DEP_1) | instskip(SKIP_1) | instid1(VALU_DEP_1)
	v_lshlrev_b64_e32 v[14:15], s2, v[8:9]
	s_add_nc_u64 s[2:3], s[2:3], 8
	v_or_b32_e32 v12, v14, v12
	s_delay_alu instid0(VALU_DEP_2)
	v_or_b32_e32 v13, v15, v13
	s_cbranch_scc1 .LBB1_40
.LBB1_41:                               ;   in Loop: Header=BB1_30 Depth=1
	s_wait_xcnt 0x0
	s_mov_b64 s[2:3], s[14:15]
	s_mov_b32 s23, 0
	s_cbranch_execz .LBB1_43
	s_branch .LBB1_44
.LBB1_42:                               ;   in Loop: Header=BB1_30 Depth=1
	s_add_nc_u64 s[2:3], s[14:15], 8
	s_wait_xcnt 0x0
                                        ; implicit-def: $vgpr12_vgpr13
	s_mov_b32 s23, 0
.LBB1_43:                               ;   in Loop: Header=BB1_30 Depth=1
	global_load_b64 v[12:13], v9, s[14:15]
	s_add_co_i32 s23, s22, -8
.LBB1_44:                               ;   in Loop: Header=BB1_30 Depth=1
	s_delay_alu instid0(SALU_CYCLE_1)
	s_cmp_gt_u32 s23, 7
	s_cbranch_scc1 .LBB1_49
; %bb.45:                               ;   in Loop: Header=BB1_30 Depth=1
	v_mov_b64_e32 v[14:15], 0
	s_cmp_eq_u32 s23, 0
	s_cbranch_scc1 .LBB1_48
; %bb.46:                               ;   in Loop: Header=BB1_30 Depth=1
	s_wait_xcnt 0x0
	s_mov_b64 s[14:15], 0
	s_mov_b64 s[16:17], 0
.LBB1_47:                               ;   Parent Loop BB1_30 Depth=1
                                        ; =>  This Inner Loop Header: Depth=2
	s_wait_xcnt 0x0
	s_add_nc_u64 s[24:25], s[2:3], s[16:17]
	s_add_nc_u64 s[16:17], s[16:17], 1
	global_load_u8 v1, v9, s[24:25]
	s_cmp_lg_u32 s23, s16
	s_wait_loadcnt 0x0
	v_and_b32_e32 v8, 0xffff, v1
	s_delay_alu instid0(VALU_DEP_1) | instskip(SKIP_1) | instid1(VALU_DEP_1)
	v_lshlrev_b64_e32 v[16:17], s14, v[8:9]
	s_add_nc_u64 s[14:15], s[14:15], 8
	v_or_b32_e32 v14, v16, v14
	s_delay_alu instid0(VALU_DEP_2)
	v_or_b32_e32 v15, v17, v15
	s_cbranch_scc1 .LBB1_47
.LBB1_48:                               ;   in Loop: Header=BB1_30 Depth=1
	s_wait_xcnt 0x0
	s_mov_b64 s[14:15], s[2:3]
	s_mov_b32 s22, 0
	s_cbranch_execz .LBB1_50
	s_branch .LBB1_51
.LBB1_49:                               ;   in Loop: Header=BB1_30 Depth=1
	s_wait_xcnt 0x0
	s_add_nc_u64 s[14:15], s[2:3], 8
	s_mov_b32 s22, 0
.LBB1_50:                               ;   in Loop: Header=BB1_30 Depth=1
	global_load_b64 v[14:15], v9, s[2:3]
	s_add_co_i32 s22, s23, -8
.LBB1_51:                               ;   in Loop: Header=BB1_30 Depth=1
	s_delay_alu instid0(SALU_CYCLE_1)
	s_cmp_gt_u32 s22, 7
	s_cbranch_scc1 .LBB1_56
; %bb.52:                               ;   in Loop: Header=BB1_30 Depth=1
	v_mov_b64_e32 v[16:17], 0
	s_cmp_eq_u32 s22, 0
	s_cbranch_scc1 .LBB1_55
; %bb.53:                               ;   in Loop: Header=BB1_30 Depth=1
	s_wait_xcnt 0x0
	s_mov_b64 s[2:3], 0
	s_mov_b64 s[16:17], 0
.LBB1_54:                               ;   Parent Loop BB1_30 Depth=1
                                        ; =>  This Inner Loop Header: Depth=2
	s_wait_xcnt 0x0
	s_add_nc_u64 s[24:25], s[14:15], s[16:17]
	s_add_nc_u64 s[16:17], s[16:17], 1
	global_load_u8 v1, v9, s[24:25]
	s_cmp_lg_u32 s22, s16
	s_wait_loadcnt 0x0
	v_and_b32_e32 v8, 0xffff, v1
	s_delay_alu instid0(VALU_DEP_1) | instskip(SKIP_1) | instid1(VALU_DEP_1)
	v_lshlrev_b64_e32 v[18:19], s2, v[8:9]
	s_add_nc_u64 s[2:3], s[2:3], 8
	v_or_b32_e32 v16, v18, v16
	s_delay_alu instid0(VALU_DEP_2)
	v_or_b32_e32 v17, v19, v17
	s_cbranch_scc1 .LBB1_54
.LBB1_55:                               ;   in Loop: Header=BB1_30 Depth=1
	s_wait_xcnt 0x0
	s_mov_b64 s[2:3], s[14:15]
	s_mov_b32 s23, 0
	s_cbranch_execz .LBB1_57
	s_branch .LBB1_58
.LBB1_56:                               ;   in Loop: Header=BB1_30 Depth=1
	s_wait_xcnt 0x0
	s_add_nc_u64 s[2:3], s[14:15], 8
                                        ; implicit-def: $vgpr16_vgpr17
	s_mov_b32 s23, 0
.LBB1_57:                               ;   in Loop: Header=BB1_30 Depth=1
	global_load_b64 v[16:17], v9, s[14:15]
	s_add_co_i32 s23, s22, -8
.LBB1_58:                               ;   in Loop: Header=BB1_30 Depth=1
	s_delay_alu instid0(SALU_CYCLE_1)
	s_cmp_gt_u32 s23, 7
	s_cbranch_scc1 .LBB1_63
; %bb.59:                               ;   in Loop: Header=BB1_30 Depth=1
	v_mov_b64_e32 v[18:19], 0
	s_cmp_eq_u32 s23, 0
	s_cbranch_scc1 .LBB1_62
; %bb.60:                               ;   in Loop: Header=BB1_30 Depth=1
	s_wait_xcnt 0x0
	s_mov_b64 s[14:15], 0
	s_mov_b64 s[16:17], 0
.LBB1_61:                               ;   Parent Loop BB1_30 Depth=1
                                        ; =>  This Inner Loop Header: Depth=2
	s_wait_xcnt 0x0
	s_add_nc_u64 s[24:25], s[2:3], s[16:17]
	s_add_nc_u64 s[16:17], s[16:17], 1
	global_load_u8 v1, v9, s[24:25]
	s_cmp_lg_u32 s23, s16
	s_wait_loadcnt 0x0
	v_and_b32_e32 v8, 0xffff, v1
	s_delay_alu instid0(VALU_DEP_1) | instskip(SKIP_1) | instid1(VALU_DEP_1)
	v_lshlrev_b64_e32 v[20:21], s14, v[8:9]
	s_add_nc_u64 s[14:15], s[14:15], 8
	v_or_b32_e32 v18, v20, v18
	s_delay_alu instid0(VALU_DEP_2)
	v_or_b32_e32 v19, v21, v19
	s_cbranch_scc1 .LBB1_61
.LBB1_62:                               ;   in Loop: Header=BB1_30 Depth=1
	s_wait_xcnt 0x0
	s_mov_b64 s[14:15], s[2:3]
	s_mov_b32 s22, 0
	s_cbranch_execz .LBB1_64
	s_branch .LBB1_65
.LBB1_63:                               ;   in Loop: Header=BB1_30 Depth=1
	s_wait_xcnt 0x0
	s_add_nc_u64 s[14:15], s[2:3], 8
	s_mov_b32 s22, 0
.LBB1_64:                               ;   in Loop: Header=BB1_30 Depth=1
	global_load_b64 v[18:19], v9, s[2:3]
	s_add_co_i32 s22, s23, -8
.LBB1_65:                               ;   in Loop: Header=BB1_30 Depth=1
	s_delay_alu instid0(SALU_CYCLE_1)
	s_cmp_gt_u32 s22, 7
	s_cbranch_scc1 .LBB1_70
; %bb.66:                               ;   in Loop: Header=BB1_30 Depth=1
	v_mov_b64_e32 v[20:21], 0
	s_cmp_eq_u32 s22, 0
	s_cbranch_scc1 .LBB1_69
; %bb.67:                               ;   in Loop: Header=BB1_30 Depth=1
	s_wait_xcnt 0x0
	s_mov_b64 s[2:3], 0
	s_mov_b64 s[16:17], 0
.LBB1_68:                               ;   Parent Loop BB1_30 Depth=1
                                        ; =>  This Inner Loop Header: Depth=2
	s_wait_xcnt 0x0
	s_add_nc_u64 s[24:25], s[14:15], s[16:17]
	s_add_nc_u64 s[16:17], s[16:17], 1
	global_load_u8 v1, v9, s[24:25]
	s_cmp_lg_u32 s22, s16
	s_wait_loadcnt 0x0
	v_and_b32_e32 v8, 0xffff, v1
	s_delay_alu instid0(VALU_DEP_1) | instskip(SKIP_1) | instid1(VALU_DEP_1)
	v_lshlrev_b64_e32 v[22:23], s2, v[8:9]
	s_add_nc_u64 s[2:3], s[2:3], 8
	v_or_b32_e32 v20, v22, v20
	s_delay_alu instid0(VALU_DEP_2)
	v_or_b32_e32 v21, v23, v21
	s_cbranch_scc1 .LBB1_68
.LBB1_69:                               ;   in Loop: Header=BB1_30 Depth=1
	s_wait_xcnt 0x0
	s_mov_b64 s[2:3], s[14:15]
	s_mov_b32 s23, 0
	s_cbranch_execz .LBB1_71
	s_branch .LBB1_72
.LBB1_70:                               ;   in Loop: Header=BB1_30 Depth=1
	s_wait_xcnt 0x0
	s_add_nc_u64 s[2:3], s[14:15], 8
                                        ; implicit-def: $vgpr20_vgpr21
	s_mov_b32 s23, 0
.LBB1_71:                               ;   in Loop: Header=BB1_30 Depth=1
	global_load_b64 v[20:21], v9, s[14:15]
	s_add_co_i32 s23, s22, -8
.LBB1_72:                               ;   in Loop: Header=BB1_30 Depth=1
	s_delay_alu instid0(SALU_CYCLE_1)
	s_cmp_gt_u32 s23, 7
	s_cbranch_scc1 .LBB1_77
; %bb.73:                               ;   in Loop: Header=BB1_30 Depth=1
	v_mov_b64_e32 v[22:23], 0
	s_cmp_eq_u32 s23, 0
	s_cbranch_scc1 .LBB1_76
; %bb.74:                               ;   in Loop: Header=BB1_30 Depth=1
	s_wait_xcnt 0x0
	s_mov_b64 s[14:15], 0
	s_mov_b64 s[16:17], s[2:3]
.LBB1_75:                               ;   Parent Loop BB1_30 Depth=1
                                        ; =>  This Inner Loop Header: Depth=2
	global_load_u8 v1, v9, s[16:17]
	s_add_co_i32 s23, s23, -1
	s_wait_xcnt 0x0
	s_add_nc_u64 s[16:17], s[16:17], 1
	s_cmp_lg_u32 s23, 0
	s_wait_loadcnt 0x0
	v_and_b32_e32 v8, 0xffff, v1
	s_delay_alu instid0(VALU_DEP_1) | instskip(SKIP_1) | instid1(VALU_DEP_1)
	v_lshlrev_b64_e32 v[24:25], s14, v[8:9]
	s_add_nc_u64 s[14:15], s[14:15], 8
	v_or_b32_e32 v22, v24, v22
	s_delay_alu instid0(VALU_DEP_2)
	v_or_b32_e32 v23, v25, v23
	s_cbranch_scc1 .LBB1_75
.LBB1_76:                               ;   in Loop: Header=BB1_30 Depth=1
	s_wait_xcnt 0x0
	s_cbranch_execz .LBB1_78
	s_branch .LBB1_79
.LBB1_77:                               ;   in Loop: Header=BB1_30 Depth=1
	s_wait_xcnt 0x0
.LBB1_78:                               ;   in Loop: Header=BB1_30 Depth=1
	global_load_b64 v[22:23], v9, s[2:3]
.LBB1_79:                               ;   in Loop: Header=BB1_30 Depth=1
	s_wait_xcnt 0x0
	v_readfirstlane_b32 s2, v29
	v_mov_b64_e32 v[30:31], 0
	s_delay_alu instid0(VALU_DEP_2)
	v_cmp_eq_u32_e64 s2, s2, v29
	s_and_saveexec_b32 s3, s2
	s_cbranch_execz .LBB1_85
; %bb.80:                               ;   in Loop: Header=BB1_30 Depth=1
	global_load_b64 v[26:27], v9, s[4:5] offset:24 scope:SCOPE_SYS
	s_wait_loadcnt 0x0
	global_inv scope:SCOPE_SYS
	s_clause 0x1
	global_load_b64 v[24:25], v9, s[4:5] offset:40
	global_load_b64 v[30:31], v9, s[4:5]
	s_mov_b32 s14, exec_lo
	s_wait_loadcnt 0x1
	v_and_b32_e32 v24, v24, v26
	v_and_b32_e32 v25, v25, v27
	s_delay_alu instid0(VALU_DEP_1) | instskip(SKIP_1) | instid1(VALU_DEP_1)
	v_mul_u64_e32 v[24:25], 24, v[24:25]
	s_wait_loadcnt 0x0
	v_add_nc_u64_e32 v[24:25], v[30:31], v[24:25]
	global_load_b64 v[24:25], v[24:25], off scope:SCOPE_SYS
	s_wait_xcnt 0x0
	s_wait_loadcnt 0x0
	global_atomic_cmpswap_b64 v[30:31], v9, v[24:27], s[4:5] offset:24 th:TH_ATOMIC_RETURN scope:SCOPE_SYS
	s_wait_loadcnt 0x0
	global_inv scope:SCOPE_SYS
	s_wait_xcnt 0x0
	v_cmpx_ne_u64_e64 v[30:31], v[26:27]
	s_cbranch_execz .LBB1_84
; %bb.81:                               ;   in Loop: Header=BB1_30 Depth=1
	s_mov_b32 s15, 0
.LBB1_82:                               ;   Parent Loop BB1_30 Depth=1
                                        ; =>  This Inner Loop Header: Depth=2
	s_sleep 1
	s_clause 0x1
	global_load_b64 v[24:25], v9, s[4:5] offset:40
	global_load_b64 v[32:33], v9, s[4:5]
	v_mov_b64_e32 v[26:27], v[30:31]
	s_wait_loadcnt 0x1
	s_delay_alu instid0(VALU_DEP_1) | instskip(SKIP_1) | instid1(VALU_DEP_1)
	v_and_b32_e32 v1, v24, v26
	s_wait_loadcnt 0x0
	v_mad_nc_u64_u32 v[30:31], v1, 24, v[32:33]
	s_delay_alu instid0(VALU_DEP_3) | instskip(NEXT) | instid1(VALU_DEP_1)
	v_and_b32_e32 v1, v25, v27
	v_mad_u32 v31, v1, 24, v31
	global_load_b64 v[24:25], v[30:31], off scope:SCOPE_SYS
	s_wait_xcnt 0x0
	s_wait_loadcnt 0x0
	global_atomic_cmpswap_b64 v[30:31], v9, v[24:27], s[4:5] offset:24 th:TH_ATOMIC_RETURN scope:SCOPE_SYS
	s_wait_loadcnt 0x0
	global_inv scope:SCOPE_SYS
	v_cmp_eq_u64_e32 vcc_lo, v[30:31], v[26:27]
	s_or_b32 s15, vcc_lo, s15
	s_wait_xcnt 0x0
	s_and_not1_b32 exec_lo, exec_lo, s15
	s_cbranch_execnz .LBB1_82
; %bb.83:                               ;   in Loop: Header=BB1_30 Depth=1
	s_or_b32 exec_lo, exec_lo, s15
.LBB1_84:                               ;   in Loop: Header=BB1_30 Depth=1
	s_delay_alu instid0(SALU_CYCLE_1)
	s_or_b32 exec_lo, exec_lo, s14
.LBB1_85:                               ;   in Loop: Header=BB1_30 Depth=1
	s_delay_alu instid0(SALU_CYCLE_1)
	s_or_b32 exec_lo, exec_lo, s3
	s_clause 0x1
	global_load_b64 v[32:33], v9, s[4:5] offset:40
	global_load_b128 v[24:27], v9, s[4:5]
	v_readfirstlane_b32 s14, v30
	v_readfirstlane_b32 s15, v31
	s_mov_b32 s3, exec_lo
	s_wait_loadcnt 0x1
	v_and_b32_e32 v32, s14, v32
	v_and_b32_e32 v33, s15, v33
	s_delay_alu instid0(VALU_DEP_1) | instskip(SKIP_1) | instid1(VALU_DEP_1)
	v_mul_u64_e32 v[30:31], 24, v[32:33]
	s_wait_loadcnt 0x0
	v_add_nc_u64_e32 v[30:31], v[24:25], v[30:31]
	s_wait_xcnt 0x0
	s_and_saveexec_b32 s16, s2
	s_cbranch_execz .LBB1_87
; %bb.86:                               ;   in Loop: Header=BB1_30 Depth=1
	v_mov_b32_e32 v8, s3
	global_store_b128 v[30:31], v[8:11], off offset:8
.LBB1_87:                               ;   in Loop: Header=BB1_30 Depth=1
	s_wait_xcnt 0x0
	s_or_b32 exec_lo, exec_lo, s16
	v_cmp_lt_u64_e64 vcc_lo, s[10:11], 57
	v_lshlrev_b64_e32 v[32:33], 12, v[32:33]
	v_and_b32_e32 v4, 0xffffff1f, v4
	s_lshl_b32 s3, s12, 2
	s_delay_alu instid0(SALU_CYCLE_1) | instskip(SKIP_1) | instid1(VALU_DEP_3)
	s_add_co_i32 s3, s3, 28
	v_cndmask_b32_e32 v1, 0, v28, vcc_lo
	v_add_nc_u64_e32 v[26:27], v[26:27], v[32:33]
	s_delay_alu instid0(VALU_DEP_2) | instskip(NEXT) | instid1(VALU_DEP_2)
	v_or_b32_e32 v1, v4, v1
	v_readfirstlane_b32 s16, v26
	s_delay_alu instid0(VALU_DEP_3) | instskip(NEXT) | instid1(VALU_DEP_3)
	v_readfirstlane_b32 s17, v27
	v_and_or_b32 v4, 0x1e0, s3, v1
	s_clause 0x3
	global_store_b128 v0, v[4:7], s[16:17]
	global_store_b128 v0, v[12:15], s[16:17] offset:16
	global_store_b128 v0, v[16:19], s[16:17] offset:32
	;; [unrolled: 1-line block ×3, first 2 shown]
	s_wait_xcnt 0x0
	s_and_saveexec_b32 s3, s2
	s_cbranch_execz .LBB1_95
; %bb.88:                               ;   in Loop: Header=BB1_30 Depth=1
	s_clause 0x1
	global_load_b64 v[16:17], v9, s[4:5] offset:32 scope:SCOPE_SYS
	global_load_b64 v[4:5], v9, s[4:5] offset:40
	s_mov_b32 s16, exec_lo
	v_dual_mov_b32 v14, s14 :: v_dual_mov_b32 v15, s15
	s_wait_loadcnt 0x0
	v_and_b32_e32 v5, s15, v5
	v_and_b32_e32 v4, s14, v4
	s_delay_alu instid0(VALU_DEP_1) | instskip(NEXT) | instid1(VALU_DEP_1)
	v_mul_u64_e32 v[4:5], 24, v[4:5]
	v_add_nc_u64_e32 v[12:13], v[24:25], v[4:5]
	global_store_b64 v[12:13], v[16:17], off
	global_wb scope:SCOPE_SYS
	s_wait_storecnt 0x0
	s_wait_xcnt 0x0
	global_atomic_cmpswap_b64 v[6:7], v9, v[14:17], s[4:5] offset:32 th:TH_ATOMIC_RETURN scope:SCOPE_SYS
	s_wait_loadcnt 0x0
	v_cmpx_ne_u64_e64 v[6:7], v[16:17]
	s_cbranch_execz .LBB1_91
; %bb.89:                               ;   in Loop: Header=BB1_30 Depth=1
	s_mov_b32 s17, 0
.LBB1_90:                               ;   Parent Loop BB1_30 Depth=1
                                        ; =>  This Inner Loop Header: Depth=2
	v_dual_mov_b32 v4, s14 :: v_dual_mov_b32 v5, s15
	s_sleep 1
	global_store_b64 v[12:13], v[6:7], off
	global_wb scope:SCOPE_SYS
	s_wait_storecnt 0x0
	s_wait_xcnt 0x0
	global_atomic_cmpswap_b64 v[4:5], v9, v[4:7], s[4:5] offset:32 th:TH_ATOMIC_RETURN scope:SCOPE_SYS
	s_wait_loadcnt 0x0
	v_cmp_eq_u64_e32 vcc_lo, v[4:5], v[6:7]
	v_mov_b64_e32 v[6:7], v[4:5]
	s_or_b32 s17, vcc_lo, s17
	s_delay_alu instid0(SALU_CYCLE_1)
	s_and_not1_b32 exec_lo, exec_lo, s17
	s_cbranch_execnz .LBB1_90
.LBB1_91:                               ;   in Loop: Header=BB1_30 Depth=1
	s_or_b32 exec_lo, exec_lo, s16
	global_load_b64 v[4:5], v9, s[4:5] offset:16
	s_mov_b32 s17, exec_lo
	s_mov_b32 s16, exec_lo
	v_mbcnt_lo_u32_b32 v1, s17, 0
	s_wait_xcnt 0x0
	s_delay_alu instid0(VALU_DEP_1)
	v_cmpx_eq_u32_e32 0, v1
	s_cbranch_execz .LBB1_93
; %bb.92:                               ;   in Loop: Header=BB1_30 Depth=1
	s_bcnt1_i32_b32 s17, s17
	s_delay_alu instid0(SALU_CYCLE_1)
	v_mov_b32_e32 v8, s17
	global_wb scope:SCOPE_SYS
	s_wait_loadcnt 0x0
	s_wait_storecnt 0x0
	global_atomic_add_u64 v[4:5], v[8:9], off offset:8 scope:SCOPE_SYS
.LBB1_93:                               ;   in Loop: Header=BB1_30 Depth=1
	s_wait_xcnt 0x0
	s_or_b32 exec_lo, exec_lo, s16
	s_wait_loadcnt 0x0
	global_load_b64 v[6:7], v[4:5], off offset:16
	s_wait_loadcnt 0x0
	v_cmp_eq_u64_e32 vcc_lo, 0, v[6:7]
	s_cbranch_vccnz .LBB1_95
; %bb.94:                               ;   in Loop: Header=BB1_30 Depth=1
	global_load_b32 v8, v[4:5], off offset:24
	s_wait_loadcnt 0x0
	v_readfirstlane_b32 s16, v8
	global_wb scope:SCOPE_SYS
	s_wait_storecnt 0x0
	s_wait_xcnt 0x0
	global_store_b64 v[6:7], v[8:9], off scope:SCOPE_SYS
	s_and_b32 m0, s16, 0xffffff
	s_sendmsg sendmsg(MSG_INTERRUPT)
.LBB1_95:                               ;   in Loop: Header=BB1_30 Depth=1
	s_wait_xcnt 0x0
	s_or_b32 exec_lo, exec_lo, s3
	v_mov_b32_e32 v1, v9
	s_delay_alu instid0(VALU_DEP_1)
	v_add_nc_u64_e32 v[4:5], v[26:27], v[0:1]
	s_branch .LBB1_99
.LBB1_96:                               ;   in Loop: Header=BB1_99 Depth=2
	s_wait_xcnt 0x0
	s_or_b32 exec_lo, exec_lo, s3
	s_delay_alu instid0(VALU_DEP_1)
	v_readfirstlane_b32 s3, v1
	s_cmp_eq_u32 s3, 0
	s_cbranch_scc1 .LBB1_98
; %bb.97:                               ;   in Loop: Header=BB1_99 Depth=2
	s_sleep 1
	s_cbranch_execnz .LBB1_99
	s_branch .LBB1_101
.LBB1_98:                               ;   in Loop: Header=BB1_30 Depth=1
	s_branch .LBB1_101
.LBB1_99:                               ;   Parent Loop BB1_30 Depth=1
                                        ; =>  This Inner Loop Header: Depth=2
	v_mov_b32_e32 v1, 1
	s_and_saveexec_b32 s3, s2
	s_cbranch_execz .LBB1_96
; %bb.100:                              ;   in Loop: Header=BB1_99 Depth=2
	global_load_b32 v1, v[30:31], off offset:20 scope:SCOPE_SYS
	s_wait_loadcnt 0x0
	global_inv scope:SCOPE_SYS
	v_and_b32_e32 v1, 1, v1
	s_branch .LBB1_96
.LBB1_101:                              ;   in Loop: Header=BB1_30 Depth=1
	global_load_b64 v[4:5], v[4:5], off
	s_wait_xcnt 0x0
	s_and_saveexec_b32 s16, s2
	s_cbranch_execz .LBB1_29
; %bb.102:                              ;   in Loop: Header=BB1_30 Depth=1
	s_clause 0x2
	global_load_b64 v[6:7], v9, s[4:5] offset:40
	global_load_b64 v[16:17], v9, s[4:5] offset:24 scope:SCOPE_SYS
	global_load_b64 v[12:13], v9, s[4:5]
	s_wait_loadcnt 0x2
	v_readfirstlane_b32 s22, v6
	v_readfirstlane_b32 s23, v7
	s_add_nc_u64 s[2:3], s[22:23], 1
	s_delay_alu instid0(SALU_CYCLE_1) | instskip(NEXT) | instid1(SALU_CYCLE_1)
	s_add_nc_u64 s[14:15], s[2:3], s[14:15]
	s_cmp_eq_u64 s[14:15], 0
	s_cselect_b32 s3, s3, s15
	s_cselect_b32 s2, s2, s14
	s_delay_alu instid0(SALU_CYCLE_1) | instskip(SKIP_1) | instid1(SALU_CYCLE_1)
	v_dual_mov_b32 v15, s3 :: v_dual_mov_b32 v14, s2
	s_and_b64 s[14:15], s[2:3], s[22:23]
	s_mul_u64 s[14:15], s[14:15], 24
	s_wait_loadcnt 0x0
	v_add_nc_u64_e32 v[6:7], s[14:15], v[12:13]
	global_store_b64 v[6:7], v[16:17], off
	global_wb scope:SCOPE_SYS
	s_wait_storecnt 0x0
	s_wait_xcnt 0x0
	global_atomic_cmpswap_b64 v[14:15], v9, v[14:17], s[4:5] offset:24 th:TH_ATOMIC_RETURN scope:SCOPE_SYS
	s_wait_loadcnt 0x0
	v_cmp_ne_u64_e32 vcc_lo, v[14:15], v[16:17]
	s_and_b32 exec_lo, exec_lo, vcc_lo
	s_cbranch_execz .LBB1_29
; %bb.103:                              ;   in Loop: Header=BB1_30 Depth=1
	s_mov_b32 s14, 0
.LBB1_104:                              ;   Parent Loop BB1_30 Depth=1
                                        ; =>  This Inner Loop Header: Depth=2
	v_dual_mov_b32 v12, s2 :: v_dual_mov_b32 v13, s3
	s_sleep 1
	global_store_b64 v[6:7], v[14:15], off
	global_wb scope:SCOPE_SYS
	s_wait_storecnt 0x0
	s_wait_xcnt 0x0
	global_atomic_cmpswap_b64 v[12:13], v9, v[12:15], s[4:5] offset:24 th:TH_ATOMIC_RETURN scope:SCOPE_SYS
	s_wait_loadcnt 0x0
	v_cmp_eq_u64_e32 vcc_lo, v[12:13], v[14:15]
	v_mov_b64_e32 v[14:15], v[12:13]
	s_or_b32 s14, vcc_lo, s14
	s_delay_alu instid0(SALU_CYCLE_1)
	s_and_not1_b32 exec_lo, exec_lo, s14
	s_cbranch_execnz .LBB1_104
	s_branch .LBB1_29
.LBB1_105:
	s_branch .LBB1_134
.LBB1_106:
                                        ; implicit-def: $vgpr4_vgpr5
	s_cbranch_execz .LBB1_134
; %bb.107:
	v_readfirstlane_b32 s2, v29
	s_wait_loadcnt 0x0
	v_mov_b64_e32 v[4:5], 0
	s_delay_alu instid0(VALU_DEP_2)
	v_cmp_eq_u32_e64 s2, s2, v29
	s_and_saveexec_b32 s3, s2
	s_cbranch_execz .LBB1_113
; %bb.108:
	v_mov_b32_e32 v1, 0
	s_mov_b32 s6, exec_lo
	global_load_b64 v[6:7], v1, s[4:5] offset:24 scope:SCOPE_SYS
	s_wait_loadcnt 0x0
	global_inv scope:SCOPE_SYS
	s_clause 0x1
	global_load_b64 v[4:5], v1, s[4:5] offset:40
	global_load_b64 v[8:9], v1, s[4:5]
	s_wait_loadcnt 0x1
	v_and_b32_e32 v4, v4, v6
	v_and_b32_e32 v5, v5, v7
	s_delay_alu instid0(VALU_DEP_1) | instskip(SKIP_1) | instid1(VALU_DEP_1)
	v_mul_u64_e32 v[4:5], 24, v[4:5]
	s_wait_loadcnt 0x0
	v_add_nc_u64_e32 v[4:5], v[8:9], v[4:5]
	global_load_b64 v[4:5], v[4:5], off scope:SCOPE_SYS
	s_wait_xcnt 0x0
	s_wait_loadcnt 0x0
	global_atomic_cmpswap_b64 v[4:5], v1, v[4:7], s[4:5] offset:24 th:TH_ATOMIC_RETURN scope:SCOPE_SYS
	s_wait_loadcnt 0x0
	global_inv scope:SCOPE_SYS
	s_wait_xcnt 0x0
	v_cmpx_ne_u64_e64 v[4:5], v[6:7]
	s_cbranch_execz .LBB1_112
; %bb.109:
	s_mov_b32 s7, 0
.LBB1_110:                              ; =>This Inner Loop Header: Depth=1
	s_sleep 1
	s_clause 0x1
	global_load_b64 v[8:9], v1, s[4:5] offset:40
	global_load_b64 v[10:11], v1, s[4:5]
	v_mov_b64_e32 v[6:7], v[4:5]
	s_wait_loadcnt 0x1
	s_delay_alu instid0(VALU_DEP_1) | instskip(NEXT) | instid1(VALU_DEP_2)
	v_and_b32_e32 v4, v8, v6
	v_and_b32_e32 v8, v9, v7
	s_wait_loadcnt 0x0
	s_delay_alu instid0(VALU_DEP_2) | instskip(NEXT) | instid1(VALU_DEP_1)
	v_mad_nc_u64_u32 v[4:5], v4, 24, v[10:11]
	v_mad_u32 v5, v8, 24, v5
	global_load_b64 v[4:5], v[4:5], off scope:SCOPE_SYS
	s_wait_xcnt 0x0
	s_wait_loadcnt 0x0
	global_atomic_cmpswap_b64 v[4:5], v1, v[4:7], s[4:5] offset:24 th:TH_ATOMIC_RETURN scope:SCOPE_SYS
	s_wait_loadcnt 0x0
	global_inv scope:SCOPE_SYS
	v_cmp_eq_u64_e32 vcc_lo, v[4:5], v[6:7]
	s_or_b32 s7, vcc_lo, s7
	s_wait_xcnt 0x0
	s_and_not1_b32 exec_lo, exec_lo, s7
	s_cbranch_execnz .LBB1_110
; %bb.111:
	s_or_b32 exec_lo, exec_lo, s7
.LBB1_112:
	s_delay_alu instid0(SALU_CYCLE_1)
	s_or_b32 exec_lo, exec_lo, s6
.LBB1_113:
	s_delay_alu instid0(SALU_CYCLE_1)
	s_or_b32 exec_lo, exec_lo, s3
	v_readfirstlane_b32 s6, v4
	v_mov_b32_e32 v1, 0
	v_readfirstlane_b32 s7, v5
	s_mov_b32 s3, exec_lo
	s_clause 0x1
	global_load_b64 v[10:11], v1, s[4:5] offset:40
	global_load_b128 v[6:9], v1, s[4:5]
	s_wait_loadcnt 0x1
	v_and_b32_e32 v4, s6, v10
	v_and_b32_e32 v5, s7, v11
	s_delay_alu instid0(VALU_DEP_1) | instskip(SKIP_1) | instid1(VALU_DEP_1)
	v_mul_u64_e32 v[10:11], 24, v[4:5]
	s_wait_loadcnt 0x0
	v_add_nc_u64_e32 v[10:11], v[6:7], v[10:11]
	s_wait_xcnt 0x0
	s_and_saveexec_b32 s10, s2
	s_cbranch_execz .LBB1_115
; %bb.114:
	v_mov_b64_e32 v[14:15], 0x100000002
	v_dual_mov_b32 v12, s3 :: v_dual_mov_b32 v13, v1
	global_store_b128 v[10:11], v[12:15], off offset:8
.LBB1_115:
	s_wait_xcnt 0x0
	s_or_b32 exec_lo, exec_lo, s10
	v_lshlrev_b64_e32 v[4:5], 12, v[4:5]
	s_mov_b32 s12, 0
	v_and_or_b32 v2, 0xffffff1f, v2, 32
	s_mov_b32 s13, s12
	s_mov_b32 s14, s12
	;; [unrolled: 1-line block ×3, first 2 shown]
	v_mov_b64_e32 v[12:13], s[12:13]
	v_add_nc_u64_e32 v[8:9], v[8:9], v[4:5]
	v_mov_b64_e32 v[14:15], s[14:15]
	v_dual_mov_b32 v4, v1 :: v_dual_mov_b32 v5, v1
	s_delay_alu instid0(VALU_DEP_3) | instskip(NEXT) | instid1(VALU_DEP_4)
	v_readfirstlane_b32 s10, v8
	v_readfirstlane_b32 s11, v9
	s_clause 0x3
	global_store_b128 v0, v[2:5], s[10:11]
	global_store_b128 v0, v[12:15], s[10:11] offset:16
	global_store_b128 v0, v[12:15], s[10:11] offset:32
	;; [unrolled: 1-line block ×3, first 2 shown]
	s_wait_xcnt 0x0
	s_and_saveexec_b32 s3, s2
	s_cbranch_execz .LBB1_123
; %bb.116:
	v_dual_mov_b32 v12, 0 :: v_dual_mov_b32 v15, s7
	s_mov_b32 s10, exec_lo
	s_clause 0x1
	global_load_b64 v[16:17], v12, s[4:5] offset:32 scope:SCOPE_SYS
	global_load_b64 v[2:3], v12, s[4:5] offset:40
	s_wait_loadcnt 0x0
	v_dual_mov_b32 v14, s6 :: v_dual_bitop2_b32 v3, s7, v3 bitop3:0x40
	v_and_b32_e32 v2, s6, v2
	s_delay_alu instid0(VALU_DEP_1) | instskip(NEXT) | instid1(VALU_DEP_1)
	v_mul_u64_e32 v[2:3], 24, v[2:3]
	v_add_nc_u64_e32 v[6:7], v[6:7], v[2:3]
	global_store_b64 v[6:7], v[16:17], off
	global_wb scope:SCOPE_SYS
	s_wait_storecnt 0x0
	s_wait_xcnt 0x0
	global_atomic_cmpswap_b64 v[4:5], v12, v[14:17], s[4:5] offset:32 th:TH_ATOMIC_RETURN scope:SCOPE_SYS
	s_wait_loadcnt 0x0
	v_cmpx_ne_u64_e64 v[4:5], v[16:17]
	s_cbranch_execz .LBB1_119
; %bb.117:
	s_mov_b32 s11, 0
.LBB1_118:                              ; =>This Inner Loop Header: Depth=1
	v_dual_mov_b32 v2, s6 :: v_dual_mov_b32 v3, s7
	s_sleep 1
	global_store_b64 v[6:7], v[4:5], off
	global_wb scope:SCOPE_SYS
	s_wait_storecnt 0x0
	s_wait_xcnt 0x0
	global_atomic_cmpswap_b64 v[2:3], v12, v[2:5], s[4:5] offset:32 th:TH_ATOMIC_RETURN scope:SCOPE_SYS
	s_wait_loadcnt 0x0
	v_cmp_eq_u64_e32 vcc_lo, v[2:3], v[4:5]
	v_mov_b64_e32 v[4:5], v[2:3]
	s_or_b32 s11, vcc_lo, s11
	s_delay_alu instid0(SALU_CYCLE_1)
	s_and_not1_b32 exec_lo, exec_lo, s11
	s_cbranch_execnz .LBB1_118
.LBB1_119:
	s_or_b32 exec_lo, exec_lo, s10
	v_mov_b32_e32 v5, 0
	s_mov_b32 s11, exec_lo
	s_mov_b32 s10, exec_lo
	v_mbcnt_lo_u32_b32 v4, s11, 0
	global_load_b64 v[2:3], v5, s[4:5] offset:16
	s_wait_xcnt 0x0
	v_cmpx_eq_u32_e32 0, v4
	s_cbranch_execz .LBB1_121
; %bb.120:
	s_bcnt1_i32_b32 s11, s11
	s_delay_alu instid0(SALU_CYCLE_1)
	v_mov_b32_e32 v4, s11
	global_wb scope:SCOPE_SYS
	s_wait_loadcnt 0x0
	s_wait_storecnt 0x0
	global_atomic_add_u64 v[2:3], v[4:5], off offset:8 scope:SCOPE_SYS
.LBB1_121:
	s_wait_xcnt 0x0
	s_or_b32 exec_lo, exec_lo, s10
	s_wait_loadcnt 0x0
	global_load_b64 v[4:5], v[2:3], off offset:16
	s_wait_loadcnt 0x0
	v_cmp_eq_u64_e32 vcc_lo, 0, v[4:5]
	s_cbranch_vccnz .LBB1_123
; %bb.122:
	global_load_b32 v2, v[2:3], off offset:24
	s_wait_xcnt 0x0
	v_mov_b32_e32 v3, 0
	s_wait_loadcnt 0x0
	v_readfirstlane_b32 s10, v2
	global_wb scope:SCOPE_SYS
	s_wait_storecnt 0x0
	global_store_b64 v[4:5], v[2:3], off scope:SCOPE_SYS
	s_and_b32 m0, s10, 0xffffff
	s_sendmsg sendmsg(MSG_INTERRUPT)
.LBB1_123:
	s_wait_xcnt 0x0
	s_or_b32 exec_lo, exec_lo, s3
	v_add_nc_u64_e32 v[2:3], v[8:9], v[0:1]
	s_branch .LBB1_127
.LBB1_124:                              ;   in Loop: Header=BB1_127 Depth=1
	s_wait_xcnt 0x0
	s_or_b32 exec_lo, exec_lo, s3
	s_delay_alu instid0(VALU_DEP_1)
	v_readfirstlane_b32 s3, v1
	s_cmp_eq_u32 s3, 0
	s_cbranch_scc1 .LBB1_126
; %bb.125:                              ;   in Loop: Header=BB1_127 Depth=1
	s_sleep 1
	s_cbranch_execnz .LBB1_127
	s_branch .LBB1_129
.LBB1_126:
	s_branch .LBB1_129
.LBB1_127:                              ; =>This Inner Loop Header: Depth=1
	v_mov_b32_e32 v1, 1
	s_and_saveexec_b32 s3, s2
	s_cbranch_execz .LBB1_124
; %bb.128:                              ;   in Loop: Header=BB1_127 Depth=1
	global_load_b32 v1, v[10:11], off offset:20 scope:SCOPE_SYS
	s_wait_loadcnt 0x0
	global_inv scope:SCOPE_SYS
	v_and_b32_e32 v1, 1, v1
	s_branch .LBB1_124
.LBB1_129:
	global_load_b64 v[4:5], v[2:3], off
	s_wait_xcnt 0x0
	s_and_saveexec_b32 s10, s2
	s_cbranch_execz .LBB1_133
; %bb.130:
	v_mov_b32_e32 v1, 0
	s_clause 0x2
	global_load_b64 v[2:3], v1, s[4:5] offset:40
	global_load_b64 v[10:11], v1, s[4:5] offset:24 scope:SCOPE_SYS
	global_load_b64 v[6:7], v1, s[4:5]
	s_wait_loadcnt 0x2
	v_readfirstlane_b32 s12, v2
	v_readfirstlane_b32 s13, v3
	s_add_nc_u64 s[2:3], s[12:13], 1
	s_delay_alu instid0(SALU_CYCLE_1) | instskip(NEXT) | instid1(SALU_CYCLE_1)
	s_add_nc_u64 s[6:7], s[2:3], s[6:7]
	s_cmp_eq_u64 s[6:7], 0
	s_cselect_b32 s3, s3, s7
	s_cselect_b32 s2, s2, s6
	v_mov_b32_e32 v9, s3
	s_and_b64 s[6:7], s[2:3], s[12:13]
	v_mov_b32_e32 v8, s2
	s_mul_u64 s[6:7], s[6:7], 24
	s_wait_loadcnt 0x0
	v_add_nc_u64_e32 v[2:3], s[6:7], v[6:7]
	global_store_b64 v[2:3], v[10:11], off
	global_wb scope:SCOPE_SYS
	s_wait_storecnt 0x0
	s_wait_xcnt 0x0
	global_atomic_cmpswap_b64 v[8:9], v1, v[8:11], s[4:5] offset:24 th:TH_ATOMIC_RETURN scope:SCOPE_SYS
	s_wait_loadcnt 0x0
	v_cmp_ne_u64_e32 vcc_lo, v[8:9], v[10:11]
	s_and_b32 exec_lo, exec_lo, vcc_lo
	s_cbranch_execz .LBB1_133
; %bb.131:
	s_mov_b32 s6, 0
.LBB1_132:                              ; =>This Inner Loop Header: Depth=1
	v_dual_mov_b32 v6, s2 :: v_dual_mov_b32 v7, s3
	s_sleep 1
	global_store_b64 v[2:3], v[8:9], off
	global_wb scope:SCOPE_SYS
	s_wait_storecnt 0x0
	s_wait_xcnt 0x0
	global_atomic_cmpswap_b64 v[6:7], v1, v[6:9], s[4:5] offset:24 th:TH_ATOMIC_RETURN scope:SCOPE_SYS
	s_wait_loadcnt 0x0
	v_cmp_eq_u64_e32 vcc_lo, v[6:7], v[8:9]
	v_mov_b64_e32 v[8:9], v[6:7]
	s_or_b32 s6, vcc_lo, s6
	s_delay_alu instid0(SALU_CYCLE_1)
	s_and_not1_b32 exec_lo, exec_lo, s6
	s_cbranch_execnz .LBB1_132
.LBB1_133:
	s_or_b32 exec_lo, exec_lo, s10
.LBB1_134:
	v_readfirstlane_b32 s2, v29
	s_wait_loadcnt 0x0
	v_mov_b64_e32 v[2:3], 0
	s_delay_alu instid0(VALU_DEP_2)
	v_cmp_eq_u32_e64 s2, s2, v29
	s_and_saveexec_b32 s3, s2
	s_cbranch_execz .LBB1_140
; %bb.135:
	v_mov_b32_e32 v1, 0
	s_mov_b32 s6, exec_lo
	global_load_b64 v[8:9], v1, s[4:5] offset:24 scope:SCOPE_SYS
	s_wait_loadcnt 0x0
	global_inv scope:SCOPE_SYS
	s_clause 0x1
	global_load_b64 v[2:3], v1, s[4:5] offset:40
	global_load_b64 v[6:7], v1, s[4:5]
	s_wait_loadcnt 0x1
	v_and_b32_e32 v2, v2, v8
	v_and_b32_e32 v3, v3, v9
	s_delay_alu instid0(VALU_DEP_1) | instskip(SKIP_1) | instid1(VALU_DEP_1)
	v_mul_u64_e32 v[2:3], 24, v[2:3]
	s_wait_loadcnt 0x0
	v_add_nc_u64_e32 v[2:3], v[6:7], v[2:3]
	global_load_b64 v[6:7], v[2:3], off scope:SCOPE_SYS
	s_wait_xcnt 0x0
	s_wait_loadcnt 0x0
	global_atomic_cmpswap_b64 v[2:3], v1, v[6:9], s[4:5] offset:24 th:TH_ATOMIC_RETURN scope:SCOPE_SYS
	s_wait_loadcnt 0x0
	global_inv scope:SCOPE_SYS
	s_wait_xcnt 0x0
	v_cmpx_ne_u64_e64 v[2:3], v[8:9]
	s_cbranch_execz .LBB1_139
; %bb.136:
	s_mov_b32 s7, 0
.LBB1_137:                              ; =>This Inner Loop Header: Depth=1
	s_sleep 1
	s_clause 0x1
	global_load_b64 v[6:7], v1, s[4:5] offset:40
	global_load_b64 v[10:11], v1, s[4:5]
	v_mov_b64_e32 v[8:9], v[2:3]
	s_wait_loadcnt 0x1
	s_delay_alu instid0(VALU_DEP_1) | instskip(NEXT) | instid1(VALU_DEP_2)
	v_and_b32_e32 v2, v6, v8
	v_and_b32_e32 v6, v7, v9
	s_wait_loadcnt 0x0
	s_delay_alu instid0(VALU_DEP_2) | instskip(NEXT) | instid1(VALU_DEP_1)
	v_mad_nc_u64_u32 v[2:3], v2, 24, v[10:11]
	v_mad_u32 v3, v6, 24, v3
	global_load_b64 v[6:7], v[2:3], off scope:SCOPE_SYS
	s_wait_xcnt 0x0
	s_wait_loadcnt 0x0
	global_atomic_cmpswap_b64 v[2:3], v1, v[6:9], s[4:5] offset:24 th:TH_ATOMIC_RETURN scope:SCOPE_SYS
	s_wait_loadcnt 0x0
	global_inv scope:SCOPE_SYS
	v_cmp_eq_u64_e32 vcc_lo, v[2:3], v[8:9]
	s_or_b32 s7, vcc_lo, s7
	s_wait_xcnt 0x0
	s_and_not1_b32 exec_lo, exec_lo, s7
	s_cbranch_execnz .LBB1_137
; %bb.138:
	s_or_b32 exec_lo, exec_lo, s7
.LBB1_139:
	s_delay_alu instid0(SALU_CYCLE_1)
	s_or_b32 exec_lo, exec_lo, s6
.LBB1_140:
	s_delay_alu instid0(SALU_CYCLE_1)
	s_or_b32 exec_lo, exec_lo, s3
	v_readfirstlane_b32 s6, v2
	v_mov_b32_e32 v1, 0
	v_readfirstlane_b32 s7, v3
	s_mov_b32 s3, exec_lo
	s_clause 0x1
	global_load_b64 v[6:7], v1, s[4:5] offset:40
	global_load_b128 v[8:11], v1, s[4:5]
	s_wait_loadcnt 0x1
	v_and_b32_e32 v2, s6, v6
	v_and_b32_e32 v3, s7, v7
	s_delay_alu instid0(VALU_DEP_1) | instskip(SKIP_1) | instid1(VALU_DEP_1)
	v_mul_u64_e32 v[6:7], 24, v[2:3]
	s_wait_loadcnt 0x0
	v_add_nc_u64_e32 v[12:13], v[8:9], v[6:7]
	s_wait_xcnt 0x0
	s_and_saveexec_b32 s10, s2
	s_cbranch_execz .LBB1_142
; %bb.141:
	v_mov_b64_e32 v[16:17], 0x100000002
	v_dual_mov_b32 v14, s3 :: v_dual_mov_b32 v15, v1
	global_store_b128 v[12:13], v[14:17], off offset:8
.LBB1_142:
	s_wait_xcnt 0x0
	s_or_b32 exec_lo, exec_lo, s10
	v_lshlrev_b64_e32 v[2:3], 12, v[2:3]
	s_mul_i32 s3, s19, s20
	s_and_b32 s10, 0xffff, s21
	s_mov_b32 s12, 0
	s_mul_i32 s3, s3, s10
	s_mov_b32 s14, s12
	s_mov_b32 s15, s12
	v_add_nc_u64_e32 v[10:11], v[10:11], v[2:3]
	s_mov_b32 s13, s12
	s_lshr_b32 s3, s3, 2
	v_mov_b64_e32 v[16:17], s[14:15]
	v_mov_b64_e32 v[14:15], s[12:13]
	v_and_or_b32 v4, 0xffffff1f, v4, 32
	v_dual_mov_b32 v7, v1 :: v_dual_mov_b32 v6, s3
	v_readfirstlane_b32 s10, v10
	v_readfirstlane_b32 s11, v11
	s_clause 0x3
	global_store_b128 v0, v[4:7], s[10:11]
	global_store_b128 v0, v[14:17], s[10:11] offset:16
	global_store_b128 v0, v[14:17], s[10:11] offset:32
	;; [unrolled: 1-line block ×3, first 2 shown]
	s_wait_xcnt 0x0
	s_and_saveexec_b32 s3, s2
	s_cbranch_execz .LBB1_150
; %bb.143:
	v_dual_mov_b32 v14, 0 :: v_dual_mov_b32 v17, s7
	s_mov_b32 s10, exec_lo
	s_clause 0x1
	global_load_b64 v[18:19], v14, s[4:5] offset:32 scope:SCOPE_SYS
	global_load_b64 v[2:3], v14, s[4:5] offset:40
	s_wait_loadcnt 0x0
	v_dual_mov_b32 v16, s6 :: v_dual_bitop2_b32 v3, s7, v3 bitop3:0x40
	v_and_b32_e32 v2, s6, v2
	s_delay_alu instid0(VALU_DEP_1) | instskip(NEXT) | instid1(VALU_DEP_1)
	v_mul_u64_e32 v[2:3], 24, v[2:3]
	v_add_nc_u64_e32 v[6:7], v[8:9], v[2:3]
	global_store_b64 v[6:7], v[18:19], off
	global_wb scope:SCOPE_SYS
	s_wait_storecnt 0x0
	s_wait_xcnt 0x0
	global_atomic_cmpswap_b64 v[4:5], v14, v[16:19], s[4:5] offset:32 th:TH_ATOMIC_RETURN scope:SCOPE_SYS
	s_wait_loadcnt 0x0
	v_cmpx_ne_u64_e64 v[4:5], v[18:19]
	s_cbranch_execz .LBB1_146
; %bb.144:
	s_mov_b32 s11, 0
.LBB1_145:                              ; =>This Inner Loop Header: Depth=1
	v_dual_mov_b32 v2, s6 :: v_dual_mov_b32 v3, s7
	s_sleep 1
	global_store_b64 v[6:7], v[4:5], off
	global_wb scope:SCOPE_SYS
	s_wait_storecnt 0x0
	s_wait_xcnt 0x0
	global_atomic_cmpswap_b64 v[2:3], v14, v[2:5], s[4:5] offset:32 th:TH_ATOMIC_RETURN scope:SCOPE_SYS
	s_wait_loadcnt 0x0
	v_cmp_eq_u64_e32 vcc_lo, v[2:3], v[4:5]
	v_mov_b64_e32 v[4:5], v[2:3]
	s_or_b32 s11, vcc_lo, s11
	s_delay_alu instid0(SALU_CYCLE_1)
	s_and_not1_b32 exec_lo, exec_lo, s11
	s_cbranch_execnz .LBB1_145
.LBB1_146:
	s_or_b32 exec_lo, exec_lo, s10
	v_mov_b32_e32 v5, 0
	s_mov_b32 s11, exec_lo
	s_mov_b32 s10, exec_lo
	v_mbcnt_lo_u32_b32 v4, s11, 0
	global_load_b64 v[2:3], v5, s[4:5] offset:16
	s_wait_xcnt 0x0
	v_cmpx_eq_u32_e32 0, v4
	s_cbranch_execz .LBB1_148
; %bb.147:
	s_bcnt1_i32_b32 s11, s11
	s_delay_alu instid0(SALU_CYCLE_1)
	v_mov_b32_e32 v4, s11
	global_wb scope:SCOPE_SYS
	s_wait_loadcnt 0x0
	s_wait_storecnt 0x0
	global_atomic_add_u64 v[2:3], v[4:5], off offset:8 scope:SCOPE_SYS
.LBB1_148:
	s_wait_xcnt 0x0
	s_or_b32 exec_lo, exec_lo, s10
	s_wait_loadcnt 0x0
	global_load_b64 v[4:5], v[2:3], off offset:16
	s_wait_loadcnt 0x0
	v_cmp_eq_u64_e32 vcc_lo, 0, v[4:5]
	s_cbranch_vccnz .LBB1_150
; %bb.149:
	global_load_b32 v2, v[2:3], off offset:24
	s_wait_xcnt 0x0
	v_mov_b32_e32 v3, 0
	s_wait_loadcnt 0x0
	v_readfirstlane_b32 s10, v2
	global_wb scope:SCOPE_SYS
	s_wait_storecnt 0x0
	global_store_b64 v[4:5], v[2:3], off scope:SCOPE_SYS
	s_and_b32 m0, s10, 0xffffff
	s_sendmsg sendmsg(MSG_INTERRUPT)
.LBB1_150:
	s_wait_xcnt 0x0
	s_or_b32 exec_lo, exec_lo, s3
	v_add_nc_u64_e32 v[2:3], v[10:11], v[0:1]
	s_branch .LBB1_154
.LBB1_151:                              ;   in Loop: Header=BB1_154 Depth=1
	s_wait_xcnt 0x0
	s_or_b32 exec_lo, exec_lo, s3
	s_delay_alu instid0(VALU_DEP_1)
	v_readfirstlane_b32 s3, v1
	s_cmp_eq_u32 s3, 0
	s_cbranch_scc1 .LBB1_153
; %bb.152:                              ;   in Loop: Header=BB1_154 Depth=1
	s_sleep 1
	s_cbranch_execnz .LBB1_154
	s_branch .LBB1_156
.LBB1_153:
	s_branch .LBB1_156
.LBB1_154:                              ; =>This Inner Loop Header: Depth=1
	v_mov_b32_e32 v1, 1
	s_and_saveexec_b32 s3, s2
	s_cbranch_execz .LBB1_151
; %bb.155:                              ;   in Loop: Header=BB1_154 Depth=1
	global_load_b32 v1, v[12:13], off offset:20 scope:SCOPE_SYS
	s_wait_loadcnt 0x0
	global_inv scope:SCOPE_SYS
	v_and_b32_e32 v1, 1, v1
	s_branch .LBB1_151
.LBB1_156:
	global_load_b64 v[2:3], v[2:3], off
	s_wait_xcnt 0x0
	s_and_saveexec_b32 s10, s2
	s_cbranch_execz .LBB1_160
; %bb.157:
	v_mov_b32_e32 v1, 0
	s_clause 0x2
	global_load_b64 v[4:5], v1, s[4:5] offset:40
	global_load_b64 v[12:13], v1, s[4:5] offset:24 scope:SCOPE_SYS
	global_load_b64 v[6:7], v1, s[4:5]
	s_wait_loadcnt 0x2
	v_readfirstlane_b32 s12, v4
	v_readfirstlane_b32 s13, v5
	s_add_nc_u64 s[2:3], s[12:13], 1
	s_delay_alu instid0(SALU_CYCLE_1) | instskip(NEXT) | instid1(SALU_CYCLE_1)
	s_add_nc_u64 s[6:7], s[2:3], s[6:7]
	s_cmp_eq_u64 s[6:7], 0
	s_cselect_b32 s3, s3, s7
	s_cselect_b32 s2, s2, s6
	v_mov_b32_e32 v11, s3
	s_and_b64 s[6:7], s[2:3], s[12:13]
	v_mov_b32_e32 v10, s2
	s_mul_u64 s[6:7], s[6:7], 24
	s_wait_loadcnt 0x0
	v_add_nc_u64_e32 v[8:9], s[6:7], v[6:7]
	global_store_b64 v[8:9], v[12:13], off
	global_wb scope:SCOPE_SYS
	s_wait_storecnt 0x0
	s_wait_xcnt 0x0
	global_atomic_cmpswap_b64 v[6:7], v1, v[10:13], s[4:5] offset:24 th:TH_ATOMIC_RETURN scope:SCOPE_SYS
	s_wait_loadcnt 0x0
	v_cmp_ne_u64_e32 vcc_lo, v[6:7], v[12:13]
	s_and_b32 exec_lo, exec_lo, vcc_lo
	s_cbranch_execz .LBB1_160
; %bb.158:
	s_mov_b32 s6, 0
.LBB1_159:                              ; =>This Inner Loop Header: Depth=1
	v_dual_mov_b32 v4, s2 :: v_dual_mov_b32 v5, s3
	s_sleep 1
	global_store_b64 v[8:9], v[6:7], off
	global_wb scope:SCOPE_SYS
	s_wait_storecnt 0x0
	s_wait_xcnt 0x0
	global_atomic_cmpswap_b64 v[4:5], v1, v[4:7], s[4:5] offset:24 th:TH_ATOMIC_RETURN scope:SCOPE_SYS
	s_wait_loadcnt 0x0
	v_cmp_eq_u64_e32 vcc_lo, v[4:5], v[6:7]
	v_mov_b64_e32 v[6:7], v[4:5]
	s_or_b32 s6, vcc_lo, s6
	s_delay_alu instid0(SALU_CYCLE_1)
	s_and_not1_b32 exec_lo, exec_lo, s6
	s_cbranch_execnz .LBB1_159
.LBB1_160:
	s_or_b32 exec_lo, exec_lo, s10
	v_readfirstlane_b32 s2, v29
	v_mov_b64_e32 v[10:11], 0
	s_delay_alu instid0(VALU_DEP_2)
	v_cmp_eq_u32_e64 s2, s2, v29
	s_and_saveexec_b32 s3, s2
	s_cbranch_execz .LBB1_166
; %bb.161:
	v_mov_b32_e32 v1, 0
	s_mov_b32 s6, exec_lo
	global_load_b64 v[6:7], v1, s[4:5] offset:24 scope:SCOPE_SYS
	s_wait_loadcnt 0x0
	global_inv scope:SCOPE_SYS
	s_clause 0x1
	global_load_b64 v[4:5], v1, s[4:5] offset:40
	global_load_b64 v[8:9], v1, s[4:5]
	s_wait_loadcnt 0x1
	v_and_b32_e32 v4, v4, v6
	v_and_b32_e32 v5, v5, v7
	s_delay_alu instid0(VALU_DEP_1) | instskip(SKIP_1) | instid1(VALU_DEP_1)
	v_mul_u64_e32 v[4:5], 24, v[4:5]
	s_wait_loadcnt 0x0
	v_add_nc_u64_e32 v[4:5], v[8:9], v[4:5]
	global_load_b64 v[4:5], v[4:5], off scope:SCOPE_SYS
	s_wait_xcnt 0x0
	s_wait_loadcnt 0x0
	global_atomic_cmpswap_b64 v[10:11], v1, v[4:7], s[4:5] offset:24 th:TH_ATOMIC_RETURN scope:SCOPE_SYS
	s_wait_loadcnt 0x0
	global_inv scope:SCOPE_SYS
	s_wait_xcnt 0x0
	v_cmpx_ne_u64_e64 v[10:11], v[6:7]
	s_cbranch_execz .LBB1_165
; %bb.162:
	s_mov_b32 s7, 0
.LBB1_163:                              ; =>This Inner Loop Header: Depth=1
	s_sleep 1
	s_clause 0x1
	global_load_b64 v[4:5], v1, s[4:5] offset:40
	global_load_b64 v[8:9], v1, s[4:5]
	v_mov_b64_e32 v[6:7], v[10:11]
	s_wait_loadcnt 0x1
	s_delay_alu instid0(VALU_DEP_1) | instskip(SKIP_1) | instid1(VALU_DEP_1)
	v_and_b32_e32 v4, v4, v6
	s_wait_loadcnt 0x0
	v_mad_nc_u64_u32 v[8:9], v4, 24, v[8:9]
	s_delay_alu instid0(VALU_DEP_3) | instskip(NEXT) | instid1(VALU_DEP_1)
	v_and_b32_e32 v4, v5, v7
	v_mad_u32 v9, v4, 24, v9
	global_load_b64 v[4:5], v[8:9], off scope:SCOPE_SYS
	s_wait_xcnt 0x0
	s_wait_loadcnt 0x0
	global_atomic_cmpswap_b64 v[10:11], v1, v[4:7], s[4:5] offset:24 th:TH_ATOMIC_RETURN scope:SCOPE_SYS
	s_wait_loadcnt 0x0
	global_inv scope:SCOPE_SYS
	v_cmp_eq_u64_e32 vcc_lo, v[10:11], v[6:7]
	s_or_b32 s7, vcc_lo, s7
	s_wait_xcnt 0x0
	s_and_not1_b32 exec_lo, exec_lo, s7
	s_cbranch_execnz .LBB1_163
; %bb.164:
	s_or_b32 exec_lo, exec_lo, s7
.LBB1_165:
	s_delay_alu instid0(SALU_CYCLE_1)
	s_or_b32 exec_lo, exec_lo, s6
.LBB1_166:
	s_delay_alu instid0(SALU_CYCLE_1)
	s_or_b32 exec_lo, exec_lo, s3
	v_readfirstlane_b32 s6, v10
	v_mov_b32_e32 v5, 0
	v_readfirstlane_b32 s7, v11
	s_mov_b32 s3, exec_lo
	s_clause 0x1
	global_load_b64 v[12:13], v5, s[4:5] offset:40
	global_load_b128 v[6:9], v5, s[4:5]
	s_wait_loadcnt 0x1
	v_and_b32_e32 v12, s6, v12
	v_and_b32_e32 v13, s7, v13
	s_delay_alu instid0(VALU_DEP_1) | instskip(SKIP_1) | instid1(VALU_DEP_1)
	v_mul_u64_e32 v[10:11], 24, v[12:13]
	s_wait_loadcnt 0x0
	v_add_nc_u64_e32 v[10:11], v[6:7], v[10:11]
	s_wait_xcnt 0x0
	s_and_saveexec_b32 s10, s2
	s_cbranch_execz .LBB1_168
; %bb.167:
	v_mov_b32_e32 v4, s3
	v_mov_b64_e32 v[16:17], 0x100000002
	s_delay_alu instid0(VALU_DEP_2)
	v_mov_b64_e32 v[14:15], v[4:5]
	global_store_b128 v[10:11], v[14:17], off offset:8
.LBB1_168:
	s_wait_xcnt 0x0
	s_or_b32 exec_lo, exec_lo, s10
	v_lshlrev_b64_e32 v[12:13], 12, v[12:13]
	s_mov_b32 s12, 0
	v_and_or_b32 v2, 0xffffff1d, v2, 34
	s_mov_b32 s13, s12
	s_mov_b32 s14, s12
	;; [unrolled: 1-line block ×3, first 2 shown]
	v_mov_b32_e32 v4, 4
	v_add_nc_u64_e32 v[8:9], v[8:9], v[12:13]
	v_mov_b64_e32 v[12:13], s[12:13]
	v_mov_b64_e32 v[14:15], s[14:15]
	s_delay_alu instid0(VALU_DEP_3) | instskip(NEXT) | instid1(VALU_DEP_4)
	v_readfirstlane_b32 s10, v8
	v_readfirstlane_b32 s11, v9
	s_clause 0x3
	global_store_b128 v0, v[2:5], s[10:11]
	global_store_b128 v0, v[12:15], s[10:11] offset:16
	global_store_b128 v0, v[12:15], s[10:11] offset:32
	;; [unrolled: 1-line block ×3, first 2 shown]
	s_wait_xcnt 0x0
	s_and_saveexec_b32 s3, s2
	s_cbranch_execz .LBB1_176
; %bb.169:
	v_dual_mov_b32 v8, 0 :: v_dual_mov_b32 v13, s7
	s_mov_b32 s10, exec_lo
	s_clause 0x1
	global_load_b64 v[14:15], v8, s[4:5] offset:32 scope:SCOPE_SYS
	global_load_b64 v[0:1], v8, s[4:5] offset:40
	s_wait_loadcnt 0x0
	v_dual_mov_b32 v12, s6 :: v_dual_bitop2_b32 v1, s7, v1 bitop3:0x40
	v_and_b32_e32 v0, s6, v0
	s_delay_alu instid0(VALU_DEP_1) | instskip(NEXT) | instid1(VALU_DEP_1)
	v_mul_u64_e32 v[0:1], 24, v[0:1]
	v_add_nc_u64_e32 v[4:5], v[6:7], v[0:1]
	global_store_b64 v[4:5], v[14:15], off
	global_wb scope:SCOPE_SYS
	s_wait_storecnt 0x0
	s_wait_xcnt 0x0
	global_atomic_cmpswap_b64 v[2:3], v8, v[12:15], s[4:5] offset:32 th:TH_ATOMIC_RETURN scope:SCOPE_SYS
	s_wait_loadcnt 0x0
	v_cmpx_ne_u64_e64 v[2:3], v[14:15]
	s_cbranch_execz .LBB1_172
; %bb.170:
	s_mov_b32 s11, 0
.LBB1_171:                              ; =>This Inner Loop Header: Depth=1
	v_dual_mov_b32 v0, s6 :: v_dual_mov_b32 v1, s7
	s_sleep 1
	global_store_b64 v[4:5], v[2:3], off
	global_wb scope:SCOPE_SYS
	s_wait_storecnt 0x0
	s_wait_xcnt 0x0
	global_atomic_cmpswap_b64 v[0:1], v8, v[0:3], s[4:5] offset:32 th:TH_ATOMIC_RETURN scope:SCOPE_SYS
	s_wait_loadcnt 0x0
	v_cmp_eq_u64_e32 vcc_lo, v[0:1], v[2:3]
	v_mov_b64_e32 v[2:3], v[0:1]
	s_or_b32 s11, vcc_lo, s11
	s_delay_alu instid0(SALU_CYCLE_1)
	s_and_not1_b32 exec_lo, exec_lo, s11
	s_cbranch_execnz .LBB1_171
.LBB1_172:
	s_or_b32 exec_lo, exec_lo, s10
	v_mov_b32_e32 v3, 0
	s_mov_b32 s11, exec_lo
	s_mov_b32 s10, exec_lo
	v_mbcnt_lo_u32_b32 v2, s11, 0
	global_load_b64 v[0:1], v3, s[4:5] offset:16
	s_wait_xcnt 0x0
	v_cmpx_eq_u32_e32 0, v2
	s_cbranch_execz .LBB1_174
; %bb.173:
	s_bcnt1_i32_b32 s11, s11
	s_delay_alu instid0(SALU_CYCLE_1)
	v_mov_b32_e32 v2, s11
	global_wb scope:SCOPE_SYS
	s_wait_loadcnt 0x0
	s_wait_storecnt 0x0
	global_atomic_add_u64 v[0:1], v[2:3], off offset:8 scope:SCOPE_SYS
.LBB1_174:
	s_wait_xcnt 0x0
	s_or_b32 exec_lo, exec_lo, s10
	s_wait_loadcnt 0x0
	global_load_b64 v[2:3], v[0:1], off offset:16
	s_wait_loadcnt 0x0
	v_cmp_eq_u64_e32 vcc_lo, 0, v[2:3]
	s_cbranch_vccnz .LBB1_176
; %bb.175:
	global_load_b32 v0, v[0:1], off offset:24
	s_wait_xcnt 0x0
	v_mov_b32_e32 v1, 0
	s_wait_loadcnt 0x0
	v_readfirstlane_b32 s10, v0
	global_wb scope:SCOPE_SYS
	s_wait_storecnt 0x0
	global_store_b64 v[2:3], v[0:1], off scope:SCOPE_SYS
	s_and_b32 m0, s10, 0xffffff
	s_sendmsg sendmsg(MSG_INTERRUPT)
.LBB1_176:
	s_wait_xcnt 0x0
	s_or_b32 exec_lo, exec_lo, s3
	s_branch .LBB1_180
.LBB1_177:                              ;   in Loop: Header=BB1_180 Depth=1
	s_wait_xcnt 0x0
	s_or_b32 exec_lo, exec_lo, s3
	s_delay_alu instid0(VALU_DEP_1)
	v_readfirstlane_b32 s3, v0
	s_cmp_eq_u32 s3, 0
	s_cbranch_scc1 .LBB1_179
; %bb.178:                              ;   in Loop: Header=BB1_180 Depth=1
	s_sleep 1
	s_cbranch_execnz .LBB1_180
	s_branch .LBB1_182
.LBB1_179:
	s_branch .LBB1_182
.LBB1_180:                              ; =>This Inner Loop Header: Depth=1
	v_mov_b32_e32 v0, 1
	s_and_saveexec_b32 s3, s2
	s_cbranch_execz .LBB1_177
; %bb.181:                              ;   in Loop: Header=BB1_180 Depth=1
	global_load_b32 v0, v[10:11], off offset:20 scope:SCOPE_SYS
	s_wait_loadcnt 0x0
	global_inv scope:SCOPE_SYS
	v_and_b32_e32 v0, 1, v0
	s_branch .LBB1_177
.LBB1_182:
	s_and_b32 exec_lo, exec_lo, s2
	s_cbranch_execz .LBB1_186
; %bb.183:
	v_mov_b32_e32 v6, 0
	s_clause 0x2
	global_load_b64 v[0:1], v6, s[4:5] offset:40
	global_load_b64 v[10:11], v6, s[4:5] offset:24 scope:SCOPE_SYS
	global_load_b64 v[2:3], v6, s[4:5]
	s_wait_loadcnt 0x2
	v_readfirstlane_b32 s10, v0
	v_readfirstlane_b32 s11, v1
	s_add_nc_u64 s[2:3], s[10:11], 1
	s_delay_alu instid0(SALU_CYCLE_1) | instskip(NEXT) | instid1(SALU_CYCLE_1)
	s_add_nc_u64 s[6:7], s[2:3], s[6:7]
	s_cmp_eq_u64 s[6:7], 0
	s_cselect_b32 s3, s3, s7
	s_cselect_b32 s2, s2, s6
	v_mov_b32_e32 v9, s3
	s_and_b64 s[6:7], s[2:3], s[10:11]
	v_mov_b32_e32 v8, s2
	s_mul_u64 s[6:7], s[6:7], 24
	s_wait_loadcnt 0x0
	v_add_nc_u64_e32 v[4:5], s[6:7], v[2:3]
	global_store_b64 v[4:5], v[10:11], off
	global_wb scope:SCOPE_SYS
	s_wait_storecnt 0x0
	s_wait_xcnt 0x0
	global_atomic_cmpswap_b64 v[2:3], v6, v[8:11], s[4:5] offset:24 th:TH_ATOMIC_RETURN scope:SCOPE_SYS
	s_wait_loadcnt 0x0
	v_cmp_ne_u64_e32 vcc_lo, v[2:3], v[10:11]
	s_and_b32 exec_lo, exec_lo, vcc_lo
	s_cbranch_execz .LBB1_186
; %bb.184:
	s_mov_b32 s6, 0
.LBB1_185:                              ; =>This Inner Loop Header: Depth=1
	v_dual_mov_b32 v0, s2 :: v_dual_mov_b32 v1, s3
	s_sleep 1
	global_store_b64 v[4:5], v[2:3], off
	global_wb scope:SCOPE_SYS
	s_wait_storecnt 0x0
	s_wait_xcnt 0x0
	global_atomic_cmpswap_b64 v[0:1], v6, v[0:3], s[4:5] offset:24 th:TH_ATOMIC_RETURN scope:SCOPE_SYS
	s_wait_loadcnt 0x0
	v_cmp_eq_u64_e32 vcc_lo, v[0:1], v[2:3]
	v_mov_b64_e32 v[2:3], v[0:1]
	s_or_b32 s6, vcc_lo, s6
	s_delay_alu instid0(SALU_CYCLE_1)
	s_and_not1_b32 exec_lo, exec_lo, s6
	s_cbranch_execnz .LBB1_185
.LBB1_186:
	s_or_b32 exec_lo, exec_lo, s18
	s_load_b96 s[4:6], s[0:1], 0x0
	v_and_b32_e32 v3, 3, v36
	s_wait_loadcnt 0x0
	s_wait_storecnt 0x0
	s_barrier_signal -1
	s_barrier_wait -1
	s_wait_kmcnt 0x0
	s_cmp_lt_i32 s6, 1
	s_cbranch_scc1 .LBB1_194
; %bb.187:
	s_cmp_lt_i32 s6, 2
	s_cbranch_scc1 .LBB1_195
; %bb.188:
	s_cmp_eq_u32 s6, 2
                                        ; implicit-def: $vgpr2
	s_cbranch_scc0 .LBB1_390
; %bb.189:
	v_mbcnt_lo_u32_b32 v2, -1, 0
	s_mov_b32 s0, exec_lo
	s_delay_alu instid0(VALU_DEP_1) | instskip(SKIP_1) | instid1(VALU_DEP_2)
	v_dual_mov_b32 v0, 0 :: v_dual_lshlrev_b32 v1, 20, v2
	v_dual_add_nc_u32 v6, -1, v2 :: v_dual_bitop2_b32 v4, 28, v2 bitop3:0x40
	v_add_nc_u64_e32 v[0:1], src_flat_scratch_base_lo, v[0:1]
	s_delay_alu instid0(VALU_DEP_2)
	v_cmp_lt_i32_e32 vcc_lo, v6, v4
	v_cndmask_b32_e32 v6, v6, v2, vcc_lo
	flat_store_b32 v[0:1], v3 scope:SCOPE_SYS
	s_wait_storecnt 0x0
	flat_load_b32 v5, v[0:1] scope:SCOPE_SYS
	s_wait_loadcnt 0x0
	v_lshlrev_b32_e32 v6, 2, v6
	s_wait_dscnt 0x0
	ds_bpermute_b32 v5, v6, v5
	s_wait_xcnt 0x0
	v_cmpx_ne_u32_e32 0, v3
	s_cbranch_execz .LBB1_191
; %bb.190:
	flat_load_b32 v6, v[0:1] scope:SCOPE_SYS
	s_wait_loadcnt_dscnt 0x0
	v_add_nc_u32_e32 v5, v6, v5
	flat_store_b32 v[0:1], v5 scope:SCOPE_SYS
	s_wait_storecnt 0x0
.LBB1_191:
	s_wait_xcnt 0x0
	s_or_b32 exec_lo, exec_lo, s0
	s_wait_dscnt 0x0
	flat_load_b32 v5, v[0:1] scope:SCOPE_SYS
	s_wait_loadcnt 0x0
	v_add_nc_u32_e32 v6, -2, v2
	s_mov_b32 s0, exec_lo
	s_delay_alu instid0(VALU_DEP_1) | instskip(SKIP_1) | instid1(VALU_DEP_1)
	v_cmp_lt_i32_e32 vcc_lo, v6, v4
	v_cndmask_b32_e32 v2, v6, v2, vcc_lo
	v_lshlrev_b32_e32 v2, 2, v2
	s_wait_dscnt 0x0
	ds_bpermute_b32 v2, v2, v5
	s_wait_xcnt 0x0
	v_cmpx_lt_u32_e32 1, v3
	s_cbranch_execz .LBB1_193
; %bb.192:
	flat_load_b32 v4, v[0:1] scope:SCOPE_SYS
	s_wait_loadcnt_dscnt 0x0
	v_add_nc_u32_e32 v2, v4, v2
	flat_store_b32 v[0:1], v2 scope:SCOPE_SYS
	s_wait_storecnt 0x0
.LBB1_193:
	s_wait_xcnt 0x0
	s_or_b32 exec_lo, exec_lo, s0
	s_wait_dscnt 0x0
	flat_load_b32 v2, v[0:1] scope:SCOPE_SYS
	s_wait_loadcnt 0x0
	s_wait_dscnt 0x0
	global_store_b32 v36, v2, s[4:5] scale_offset
	s_cbranch_execz .LBB1_196
	s_branch .LBB1_197
.LBB1_194:
                                        ; implicit-def: $vgpr2
	s_branch .LBB1_198
.LBB1_195:
                                        ; implicit-def: $vgpr2
.LBB1_196:
	s_wait_xcnt 0x1
	v_mbcnt_lo_u32_b32 v0, -1, 0
	s_wait_xcnt 0x0
	s_delay_alu instid0(VALU_DEP_1) | instskip(SKIP_1) | instid1(VALU_DEP_1)
	v_xor_b32_e32 v2, 2, v0
	v_and_b32_e32 v1, 28, v0
	v_dual_add_nc_u32 v1, 4, v1 :: v_dual_bitop2_b32 v4, 1, v0 bitop3:0x14
	s_delay_alu instid0(VALU_DEP_1) | instskip(SKIP_1) | instid1(VALU_DEP_3)
	v_cmp_lt_i32_e32 vcc_lo, v2, v1
	v_cndmask_b32_e32 v2, v0, v2, vcc_lo
	v_cmp_lt_i32_e32 vcc_lo, v4, v1
	s_delay_alu instid0(VALU_DEP_2) | instskip(SKIP_4) | instid1(VALU_DEP_2)
	v_lshlrev_b32_e32 v2, 2, v2
	ds_bpermute_b32 v2, v2, v3
	v_cndmask_b32_e32 v0, v0, v4, vcc_lo
	v_cmp_eq_u32_e32 vcc_lo, 0, v3
	s_wait_dscnt 0x0
	v_dual_add_nc_u32 v1, v2, v3 :: v_dual_lshlrev_b32 v0, 2, v0
	ds_bpermute_b32 v0, v0, v1
	s_wait_dscnt 0x0
	v_add_nc_u32_e32 v0, v0, v1
	s_delay_alu instid0(VALU_DEP_1)
	v_cndmask_b32_e32 v2, -1, v0, vcc_lo
.LBB1_197:
	s_cbranch_execnz .LBB1_202
.LBB1_198:
	s_cmp_lg_u32 s6, 0
                                        ; implicit-def: $vgpr2
	s_cbranch_scc1 .LBB1_202
; %bb.199:
	s_wait_xcnt 0x0
	v_mbcnt_lo_u32_b32 v2, -1, 0
	s_mov_b32 s0, exec_lo
	s_delay_alu instid0(VALU_DEP_1) | instskip(SKIP_1) | instid1(VALU_DEP_2)
	v_dual_mov_b32 v0, 4 :: v_dual_lshlrev_b32 v1, 20, v2
	v_lshl_or_b32 v6, v2, 2, 8
	v_add_nc_u64_e32 v[0:1], src_flat_scratch_base_lo, v[0:1]
	flat_store_b32 v[0:1], v3 scope:SCOPE_SYS
	s_wait_storecnt 0x0
	flat_load_b32 v4, v[0:1] scope:SCOPE_SYS
	s_wait_loadcnt 0x0
	flat_load_b32 v5, v[0:1] scope:SCOPE_SYS
	s_wait_loadcnt_dscnt 0x1
	ds_bpermute_b32 v4, v6, v4
	v_and_b32_e32 v6, 3, v2
	s_delay_alu instid0(VALU_DEP_1)
	v_cmp_ne_u32_e32 vcc_lo, 3, v6
	v_add_co_ci_u32_e64 v2, null, 0, v2, vcc_lo
	s_wait_dscnt 0x0
	v_add_nc_u32_e32 v4, v5, v4
	flat_store_b32 v[0:1], v4 scope:SCOPE_SYS
	s_wait_storecnt 0x0
	flat_load_b32 v4, v[0:1] scope:SCOPE_SYS
	s_wait_loadcnt 0x0
	flat_load_b32 v5, v[0:1] scope:SCOPE_SYS
	s_wait_loadcnt 0x0
	v_lshlrev_b32_e32 v2, 2, v2
	s_wait_dscnt 0x1
	ds_bpermute_b32 v4, v2, v4
	s_wait_dscnt 0x0
	v_dual_mov_b32 v2, -1 :: v_dual_add_nc_u32 v4, v5, v4
	flat_store_b32 v[0:1], v4 scope:SCOPE_SYS
	s_wait_storecnt 0x0
	s_wait_xcnt 0x0
	v_cmpx_eq_u32_e32 0, v3
	s_cbranch_execz .LBB1_201
; %bb.200:
	flat_load_b32 v2, v[0:1] scope:SCOPE_SYS
	s_wait_loadcnt 0x0
.LBB1_201:
	s_wait_xcnt 0x0
	s_or_b32 exec_lo, exec_lo, s0
.LBB1_202:
	v_cmp_eq_u32_e32 vcc_lo, 0, v3
	s_cmp_lg_u32 s6, 2
	s_cselect_b32 s0, -1, 0
	s_delay_alu instid0(SALU_CYCLE_1)
	s_and_b32 s0, s0, vcc_lo
	s_wait_xcnt 0x0
	s_and_saveexec_b32 s1, s0
	s_cbranch_execz .LBB1_389
; %bb.203:
	s_load_b64 s[2:3], s[8:9], 0x50
	v_mbcnt_lo_u32_b32 v3, -1, 0
	v_mov_b64_e32 v[0:1], 0
	s_delay_alu instid0(VALU_DEP_2) | instskip(NEXT) | instid1(VALU_DEP_1)
	v_readfirstlane_b32 s0, v3
	v_cmp_eq_u32_e64 s0, s0, v3
	s_and_saveexec_b32 s1, s0
	s_cbranch_execz .LBB1_209
; %bb.204:
	v_mov_b32_e32 v4, 0
	s_mov_b32 s6, exec_lo
	s_wait_kmcnt 0x0
	global_load_b64 v[8:9], v4, s[2:3] offset:24 scope:SCOPE_SYS
	s_wait_loadcnt 0x0
	global_inv scope:SCOPE_SYS
	s_clause 0x1
	global_load_b64 v[0:1], v4, s[2:3] offset:40
	global_load_b64 v[6:7], v4, s[2:3]
	s_wait_loadcnt 0x1
	v_and_b32_e32 v0, v0, v8
	v_and_b32_e32 v1, v1, v9
	s_delay_alu instid0(VALU_DEP_1) | instskip(SKIP_1) | instid1(VALU_DEP_1)
	v_mul_u64_e32 v[0:1], 24, v[0:1]
	s_wait_loadcnt 0x0
	v_add_nc_u64_e32 v[0:1], v[6:7], v[0:1]
	global_load_b64 v[6:7], v[0:1], off scope:SCOPE_SYS
	s_wait_xcnt 0x0
	s_wait_loadcnt 0x0
	global_atomic_cmpswap_b64 v[0:1], v4, v[6:9], s[2:3] offset:24 th:TH_ATOMIC_RETURN scope:SCOPE_SYS
	s_wait_loadcnt 0x0
	global_inv scope:SCOPE_SYS
	s_wait_xcnt 0x0
	v_cmpx_ne_u64_e64 v[0:1], v[8:9]
	s_cbranch_execz .LBB1_208
; %bb.205:
	s_mov_b32 s7, 0
.LBB1_206:                              ; =>This Inner Loop Header: Depth=1
	s_sleep 1
	s_clause 0x1
	global_load_b64 v[6:7], v4, s[2:3] offset:40
	global_load_b64 v[10:11], v4, s[2:3]
	v_mov_b64_e32 v[8:9], v[0:1]
	s_wait_loadcnt 0x1
	s_delay_alu instid0(VALU_DEP_1) | instskip(NEXT) | instid1(VALU_DEP_2)
	v_and_b32_e32 v0, v6, v8
	v_and_b32_e32 v5, v7, v9
	s_wait_loadcnt 0x0
	s_delay_alu instid0(VALU_DEP_2) | instskip(NEXT) | instid1(VALU_DEP_1)
	v_mad_nc_u64_u32 v[0:1], v0, 24, v[10:11]
	v_mad_u32 v1, v5, 24, v1
	global_load_b64 v[6:7], v[0:1], off scope:SCOPE_SYS
	s_wait_xcnt 0x0
	s_wait_loadcnt 0x0
	global_atomic_cmpswap_b64 v[0:1], v4, v[6:9], s[2:3] offset:24 th:TH_ATOMIC_RETURN scope:SCOPE_SYS
	s_wait_loadcnt 0x0
	global_inv scope:SCOPE_SYS
	v_cmp_eq_u64_e32 vcc_lo, v[0:1], v[8:9]
	s_or_b32 s7, vcc_lo, s7
	s_wait_xcnt 0x0
	s_and_not1_b32 exec_lo, exec_lo, s7
	s_cbranch_execnz .LBB1_206
; %bb.207:
	s_or_b32 exec_lo, exec_lo, s7
.LBB1_208:
	s_delay_alu instid0(SALU_CYCLE_1)
	s_or_b32 exec_lo, exec_lo, s6
.LBB1_209:
	s_delay_alu instid0(SALU_CYCLE_1)
	s_or_b32 exec_lo, exec_lo, s1
	v_readfirstlane_b32 s6, v0
	v_mov_b32_e32 v5, 0
	v_readfirstlane_b32 s7, v1
	s_mov_b32 s1, exec_lo
	s_wait_kmcnt 0x0
	s_clause 0x1
	global_load_b64 v[6:7], v5, s[2:3] offset:40
	global_load_b128 v[8:11], v5, s[2:3]
	s_wait_loadcnt 0x1
	v_and_b32_e32 v12, s6, v6
	v_and_b32_e32 v13, s7, v7
	s_delay_alu instid0(VALU_DEP_1) | instskip(SKIP_1) | instid1(VALU_DEP_1)
	v_mul_u64_e32 v[0:1], 24, v[12:13]
	s_wait_loadcnt 0x0
	v_add_nc_u64_e32 v[0:1], v[8:9], v[0:1]
	s_wait_xcnt 0x0
	s_and_saveexec_b32 s8, s0
	s_cbranch_execz .LBB1_211
; %bb.210:
	v_mov_b64_e32 v[6:7], 0x100000002
	v_mov_b32_e32 v4, s1
	global_store_b128 v[0:1], v[4:7], off offset:8
.LBB1_211:
	s_wait_xcnt 0x0
	s_or_b32 exec_lo, exec_lo, s8
	v_lshlrev_b64_e32 v[6:7], 12, v[12:13]
	s_mov_b32 s8, 0
	v_dual_lshlrev_b32 v4, 6, v3 :: v_dual_mov_b32 v12, 33
	s_mov_b32 s10, s8
	s_mov_b32 s11, s8
	s_mov_b32 s9, s8
	s_delay_alu instid0(VALU_DEP_2)
	v_add_nc_u64_e32 v[10:11], v[10:11], v[6:7]
	v_mov_b64_e32 v[18:19], s[10:11]
	v_mov_b64_e32 v[16:17], s[8:9]
	v_dual_mov_b32 v13, v5 :: v_dual_mov_b32 v14, v5
	v_mov_b32_e32 v15, v5
	v_readfirstlane_b32 s12, v10
	v_readfirstlane_b32 s13, v11
	s_clause 0x3
	global_store_b128 v4, v[12:15], s[12:13]
	global_store_b128 v4, v[16:19], s[12:13] offset:16
	global_store_b128 v4, v[16:19], s[12:13] offset:32
	;; [unrolled: 1-line block ×3, first 2 shown]
	s_wait_xcnt 0x0
	s_and_saveexec_b32 s1, s0
	s_cbranch_execz .LBB1_219
; %bb.212:
	v_dual_mov_b32 v14, 0 :: v_dual_mov_b32 v17, s7
	s_mov_b32 s8, exec_lo
	s_clause 0x1
	global_load_b64 v[18:19], v14, s[2:3] offset:32 scope:SCOPE_SYS
	global_load_b64 v[6:7], v14, s[2:3] offset:40
	s_wait_loadcnt 0x0
	v_dual_mov_b32 v16, s6 :: v_dual_bitop2_b32 v7, s7, v7 bitop3:0x40
	v_and_b32_e32 v6, s6, v6
	s_delay_alu instid0(VALU_DEP_1) | instskip(NEXT) | instid1(VALU_DEP_1)
	v_mul_u64_e32 v[6:7], 24, v[6:7]
	v_add_nc_u64_e32 v[12:13], v[8:9], v[6:7]
	global_store_b64 v[12:13], v[18:19], off
	global_wb scope:SCOPE_SYS
	s_wait_storecnt 0x0
	s_wait_xcnt 0x0
	global_atomic_cmpswap_b64 v[8:9], v14, v[16:19], s[2:3] offset:32 th:TH_ATOMIC_RETURN scope:SCOPE_SYS
	s_wait_loadcnt 0x0
	v_cmpx_ne_u64_e64 v[8:9], v[18:19]
	s_cbranch_execz .LBB1_215
; %bb.213:
	s_mov_b32 s9, 0
.LBB1_214:                              ; =>This Inner Loop Header: Depth=1
	v_dual_mov_b32 v6, s6 :: v_dual_mov_b32 v7, s7
	s_sleep 1
	global_store_b64 v[12:13], v[8:9], off
	global_wb scope:SCOPE_SYS
	s_wait_storecnt 0x0
	s_wait_xcnt 0x0
	global_atomic_cmpswap_b64 v[6:7], v14, v[6:9], s[2:3] offset:32 th:TH_ATOMIC_RETURN scope:SCOPE_SYS
	s_wait_loadcnt 0x0
	v_cmp_eq_u64_e32 vcc_lo, v[6:7], v[8:9]
	v_mov_b64_e32 v[8:9], v[6:7]
	s_or_b32 s9, vcc_lo, s9
	s_delay_alu instid0(SALU_CYCLE_1)
	s_and_not1_b32 exec_lo, exec_lo, s9
	s_cbranch_execnz .LBB1_214
.LBB1_215:
	s_or_b32 exec_lo, exec_lo, s8
	v_mov_b32_e32 v9, 0
	s_mov_b32 s9, exec_lo
	s_mov_b32 s8, exec_lo
	v_mbcnt_lo_u32_b32 v8, s9, 0
	global_load_b64 v[6:7], v9, s[2:3] offset:16
	s_wait_xcnt 0x0
	v_cmpx_eq_u32_e32 0, v8
	s_cbranch_execz .LBB1_217
; %bb.216:
	s_bcnt1_i32_b32 s9, s9
	s_delay_alu instid0(SALU_CYCLE_1)
	v_mov_b32_e32 v8, s9
	global_wb scope:SCOPE_SYS
	s_wait_loadcnt 0x0
	s_wait_storecnt 0x0
	global_atomic_add_u64 v[6:7], v[8:9], off offset:8 scope:SCOPE_SYS
.LBB1_217:
	s_wait_xcnt 0x0
	s_or_b32 exec_lo, exec_lo, s8
	s_wait_loadcnt 0x0
	global_load_b64 v[8:9], v[6:7], off offset:16
	s_wait_loadcnt 0x0
	v_cmp_eq_u64_e32 vcc_lo, 0, v[8:9]
	s_cbranch_vccnz .LBB1_219
; %bb.218:
	global_load_b32 v6, v[6:7], off offset:24
	s_wait_xcnt 0x0
	v_mov_b32_e32 v7, 0
	s_wait_loadcnt 0x0
	v_readfirstlane_b32 s8, v6
	global_wb scope:SCOPE_SYS
	s_wait_storecnt 0x0
	global_store_b64 v[8:9], v[6:7], off scope:SCOPE_SYS
	s_and_b32 m0, s8, 0xffffff
	s_sendmsg sendmsg(MSG_INTERRUPT)
.LBB1_219:
	s_wait_xcnt 0x0
	s_or_b32 exec_lo, exec_lo, s1
	v_add_nc_u64_e32 v[6:7], v[10:11], v[4:5]
	s_branch .LBB1_223
.LBB1_220:                              ;   in Loop: Header=BB1_223 Depth=1
	s_wait_xcnt 0x0
	s_or_b32 exec_lo, exec_lo, s1
	s_delay_alu instid0(VALU_DEP_1)
	v_readfirstlane_b32 s1, v5
	s_cmp_eq_u32 s1, 0
	s_cbranch_scc1 .LBB1_222
; %bb.221:                              ;   in Loop: Header=BB1_223 Depth=1
	s_sleep 1
	s_cbranch_execnz .LBB1_223
	s_branch .LBB1_225
.LBB1_222:
	s_branch .LBB1_225
.LBB1_223:                              ; =>This Inner Loop Header: Depth=1
	v_mov_b32_e32 v5, 1
	s_and_saveexec_b32 s1, s0
	s_cbranch_execz .LBB1_220
; %bb.224:                              ;   in Loop: Header=BB1_223 Depth=1
	global_load_b32 v5, v[0:1], off offset:20 scope:SCOPE_SYS
	s_wait_loadcnt 0x0
	global_inv scope:SCOPE_SYS
	v_and_b32_e32 v5, 1, v5
	s_branch .LBB1_220
.LBB1_225:
	global_load_b64 v[6:7], v[6:7], off
	s_wait_xcnt 0x0
	s_and_saveexec_b32 s8, s0
	s_cbranch_execz .LBB1_229
; %bb.226:
	v_mov_b32_e32 v5, 0
	s_clause 0x2
	global_load_b64 v[0:1], v5, s[2:3] offset:40
	global_load_b64 v[12:13], v5, s[2:3] offset:24 scope:SCOPE_SYS
	global_load_b64 v[8:9], v5, s[2:3]
	s_wait_loadcnt 0x2
	v_readfirstlane_b32 s10, v0
	v_readfirstlane_b32 s11, v1
	s_add_nc_u64 s[0:1], s[10:11], 1
	s_delay_alu instid0(SALU_CYCLE_1) | instskip(NEXT) | instid1(SALU_CYCLE_1)
	s_add_nc_u64 s[6:7], s[0:1], s[6:7]
	s_cmp_eq_u64 s[6:7], 0
	s_cselect_b32 s1, s1, s7
	s_cselect_b32 s0, s0, s6
	v_mov_b32_e32 v11, s1
	s_and_b64 s[6:7], s[0:1], s[10:11]
	v_mov_b32_e32 v10, s0
	s_mul_u64 s[6:7], s[6:7], 24
	s_wait_loadcnt 0x0
	v_add_nc_u64_e32 v[0:1], s[6:7], v[8:9]
	global_store_b64 v[0:1], v[12:13], off
	global_wb scope:SCOPE_SYS
	s_wait_storecnt 0x0
	s_wait_xcnt 0x0
	global_atomic_cmpswap_b64 v[10:11], v5, v[10:13], s[2:3] offset:24 th:TH_ATOMIC_RETURN scope:SCOPE_SYS
	s_wait_loadcnt 0x0
	v_cmp_ne_u64_e32 vcc_lo, v[10:11], v[12:13]
	s_and_b32 exec_lo, exec_lo, vcc_lo
	s_cbranch_execz .LBB1_229
; %bb.227:
	s_mov_b32 s6, 0
.LBB1_228:                              ; =>This Inner Loop Header: Depth=1
	v_dual_mov_b32 v8, s0 :: v_dual_mov_b32 v9, s1
	s_sleep 1
	global_store_b64 v[0:1], v[10:11], off
	global_wb scope:SCOPE_SYS
	s_wait_storecnt 0x0
	s_wait_xcnt 0x0
	global_atomic_cmpswap_b64 v[8:9], v5, v[8:11], s[2:3] offset:24 th:TH_ATOMIC_RETURN scope:SCOPE_SYS
	s_wait_loadcnt 0x0
	v_cmp_eq_u64_e32 vcc_lo, v[8:9], v[10:11]
	v_mov_b64_e32 v[10:11], v[8:9]
	s_or_b32 s6, vcc_lo, s6
	s_delay_alu instid0(SALU_CYCLE_1)
	s_and_not1_b32 exec_lo, exec_lo, s6
	s_cbranch_execnz .LBB1_228
.LBB1_229:
	s_or_b32 exec_lo, exec_lo, s8
	s_get_pc_i64 s[6:7]
	s_add_nc_u64 s[6:7], s[6:7], .str.1@rel64+4
	s_delay_alu instid0(SALU_CYCLE_1)
	s_cmp_lg_u64 s[6:7], 0
	s_cbranch_scc0 .LBB1_308
; %bb.230:
	v_mov_b64_e32 v[14:15], 0x100000002
	s_wait_loadcnt 0x0
	v_dual_mov_b32 v13, 0 :: v_dual_bitop2_b32 v0, 2, v6 bitop3:0x40
	v_dual_mov_b32 v9, v7 :: v_dual_bitop2_b32 v8, -3, v6 bitop3:0x40
	s_mov_b64 s[8:9], 58
	s_branch .LBB1_232
.LBB1_231:                              ;   in Loop: Header=BB1_232 Depth=1
	s_or_b32 exec_lo, exec_lo, s14
	s_sub_nc_u64 s[8:9], s[8:9], s[10:11]
	s_add_nc_u64 s[6:7], s[6:7], s[10:11]
	s_cmp_lg_u64 s[8:9], 0
	s_cbranch_scc0 .LBB1_307
.LBB1_232:                              ; =>This Loop Header: Depth=1
                                        ;     Child Loop BB1_235 Depth 2
                                        ;     Child Loop BB1_242 Depth 2
	;; [unrolled: 1-line block ×11, first 2 shown]
	v_min_u64 v[10:11], s[8:9], 56
	v_cmp_gt_u64_e64 s0, s[8:9], 7
	s_and_b32 vcc_lo, exec_lo, s0
	v_readfirstlane_b32 s10, v10
	v_readfirstlane_b32 s11, v11
	s_cbranch_vccnz .LBB1_237
; %bb.233:                              ;   in Loop: Header=BB1_232 Depth=1
	v_mov_b64_e32 v[10:11], 0
	s_cmp_eq_u64 s[8:9], 0
	s_cbranch_scc1 .LBB1_236
; %bb.234:                              ;   in Loop: Header=BB1_232 Depth=1
	s_mov_b64 s[0:1], 0
	s_mov_b64 s[12:13], 0
.LBB1_235:                              ;   Parent Loop BB1_232 Depth=1
                                        ; =>  This Inner Loop Header: Depth=2
	s_wait_xcnt 0x0
	s_add_nc_u64 s[14:15], s[6:7], s[12:13]
	s_add_nc_u64 s[12:13], s[12:13], 1
	global_load_u8 v1, v13, s[14:15]
	s_cmp_lg_u32 s10, s12
	s_wait_loadcnt 0x0
	v_and_b32_e32 v12, 0xffff, v1
	s_delay_alu instid0(VALU_DEP_1) | instskip(SKIP_1) | instid1(VALU_DEP_1)
	v_lshlrev_b64_e32 v[16:17], s0, v[12:13]
	s_add_nc_u64 s[0:1], s[0:1], 8
	v_or_b32_e32 v10, v16, v10
	s_delay_alu instid0(VALU_DEP_2)
	v_or_b32_e32 v11, v17, v11
	s_cbranch_scc1 .LBB1_235
.LBB1_236:                              ;   in Loop: Header=BB1_232 Depth=1
	s_mov_b64 s[12:13], s[6:7]
	s_mov_b32 s16, 0
	s_cbranch_execz .LBB1_238
	s_branch .LBB1_239
.LBB1_237:                              ;   in Loop: Header=BB1_232 Depth=1
	s_add_nc_u64 s[12:13], s[6:7], 8
	s_mov_b32 s16, 0
.LBB1_238:                              ;   in Loop: Header=BB1_232 Depth=1
	global_load_b64 v[10:11], v13, s[6:7]
	s_add_co_i32 s16, s10, -8
.LBB1_239:                              ;   in Loop: Header=BB1_232 Depth=1
	s_delay_alu instid0(SALU_CYCLE_1)
	s_cmp_gt_u32 s16, 7
	s_cbranch_scc1 .LBB1_244
; %bb.240:                              ;   in Loop: Header=BB1_232 Depth=1
	v_mov_b64_e32 v[16:17], 0
	s_cmp_eq_u32 s16, 0
	s_cbranch_scc1 .LBB1_243
; %bb.241:                              ;   in Loop: Header=BB1_232 Depth=1
	s_mov_b64 s[0:1], 0
	s_wait_xcnt 0x0
	s_mov_b64 s[14:15], 0
.LBB1_242:                              ;   Parent Loop BB1_232 Depth=1
                                        ; =>  This Inner Loop Header: Depth=2
	s_wait_xcnt 0x0
	s_add_nc_u64 s[18:19], s[12:13], s[14:15]
	s_add_nc_u64 s[14:15], s[14:15], 1
	global_load_u8 v1, v13, s[18:19]
	s_cmp_lg_u32 s16, s14
	s_wait_loadcnt 0x0
	v_and_b32_e32 v12, 0xffff, v1
	s_delay_alu instid0(VALU_DEP_1) | instskip(SKIP_1) | instid1(VALU_DEP_1)
	v_lshlrev_b64_e32 v[18:19], s0, v[12:13]
	s_add_nc_u64 s[0:1], s[0:1], 8
	v_or_b32_e32 v16, v18, v16
	s_delay_alu instid0(VALU_DEP_2)
	v_or_b32_e32 v17, v19, v17
	s_cbranch_scc1 .LBB1_242
.LBB1_243:                              ;   in Loop: Header=BB1_232 Depth=1
	s_wait_xcnt 0x0
	s_mov_b64 s[0:1], s[12:13]
	s_mov_b32 s17, 0
	s_cbranch_execz .LBB1_245
	s_branch .LBB1_246
.LBB1_244:                              ;   in Loop: Header=BB1_232 Depth=1
	s_add_nc_u64 s[0:1], s[12:13], 8
	s_wait_xcnt 0x0
                                        ; implicit-def: $vgpr16_vgpr17
	s_mov_b32 s17, 0
.LBB1_245:                              ;   in Loop: Header=BB1_232 Depth=1
	global_load_b64 v[16:17], v13, s[12:13]
	s_add_co_i32 s17, s16, -8
.LBB1_246:                              ;   in Loop: Header=BB1_232 Depth=1
	s_delay_alu instid0(SALU_CYCLE_1)
	s_cmp_gt_u32 s17, 7
	s_cbranch_scc1 .LBB1_251
; %bb.247:                              ;   in Loop: Header=BB1_232 Depth=1
	v_mov_b64_e32 v[18:19], 0
	s_cmp_eq_u32 s17, 0
	s_cbranch_scc1 .LBB1_250
; %bb.248:                              ;   in Loop: Header=BB1_232 Depth=1
	s_wait_xcnt 0x0
	s_mov_b64 s[12:13], 0
	s_mov_b64 s[14:15], 0
.LBB1_249:                              ;   Parent Loop BB1_232 Depth=1
                                        ; =>  This Inner Loop Header: Depth=2
	s_wait_xcnt 0x0
	s_add_nc_u64 s[18:19], s[0:1], s[14:15]
	s_add_nc_u64 s[14:15], s[14:15], 1
	global_load_u8 v1, v13, s[18:19]
	s_cmp_lg_u32 s17, s14
	s_wait_loadcnt 0x0
	v_and_b32_e32 v12, 0xffff, v1
	s_delay_alu instid0(VALU_DEP_1) | instskip(SKIP_1) | instid1(VALU_DEP_1)
	v_lshlrev_b64_e32 v[20:21], s12, v[12:13]
	s_add_nc_u64 s[12:13], s[12:13], 8
	v_or_b32_e32 v18, v20, v18
	s_delay_alu instid0(VALU_DEP_2)
	v_or_b32_e32 v19, v21, v19
	s_cbranch_scc1 .LBB1_249
.LBB1_250:                              ;   in Loop: Header=BB1_232 Depth=1
	s_wait_xcnt 0x0
	s_mov_b64 s[12:13], s[0:1]
	s_mov_b32 s16, 0
	s_cbranch_execz .LBB1_252
	s_branch .LBB1_253
.LBB1_251:                              ;   in Loop: Header=BB1_232 Depth=1
	s_wait_xcnt 0x0
	s_add_nc_u64 s[12:13], s[0:1], 8
	s_mov_b32 s16, 0
.LBB1_252:                              ;   in Loop: Header=BB1_232 Depth=1
	global_load_b64 v[18:19], v13, s[0:1]
	s_add_co_i32 s16, s17, -8
.LBB1_253:                              ;   in Loop: Header=BB1_232 Depth=1
	s_delay_alu instid0(SALU_CYCLE_1)
	s_cmp_gt_u32 s16, 7
	s_cbranch_scc1 .LBB1_258
; %bb.254:                              ;   in Loop: Header=BB1_232 Depth=1
	v_mov_b64_e32 v[20:21], 0
	s_cmp_eq_u32 s16, 0
	s_cbranch_scc1 .LBB1_257
; %bb.255:                              ;   in Loop: Header=BB1_232 Depth=1
	s_wait_xcnt 0x0
	s_mov_b64 s[0:1], 0
	s_mov_b64 s[14:15], 0
.LBB1_256:                              ;   Parent Loop BB1_232 Depth=1
                                        ; =>  This Inner Loop Header: Depth=2
	s_wait_xcnt 0x0
	s_add_nc_u64 s[18:19], s[12:13], s[14:15]
	s_add_nc_u64 s[14:15], s[14:15], 1
	global_load_u8 v1, v13, s[18:19]
	s_cmp_lg_u32 s16, s14
	s_wait_loadcnt 0x0
	v_and_b32_e32 v12, 0xffff, v1
	s_delay_alu instid0(VALU_DEP_1) | instskip(SKIP_1) | instid1(VALU_DEP_1)
	v_lshlrev_b64_e32 v[22:23], s0, v[12:13]
	s_add_nc_u64 s[0:1], s[0:1], 8
	v_or_b32_e32 v20, v22, v20
	s_delay_alu instid0(VALU_DEP_2)
	v_or_b32_e32 v21, v23, v21
	s_cbranch_scc1 .LBB1_256
.LBB1_257:                              ;   in Loop: Header=BB1_232 Depth=1
	s_wait_xcnt 0x0
	s_mov_b64 s[0:1], s[12:13]
	s_mov_b32 s17, 0
	s_cbranch_execz .LBB1_259
	s_branch .LBB1_260
.LBB1_258:                              ;   in Loop: Header=BB1_232 Depth=1
	s_wait_xcnt 0x0
	s_add_nc_u64 s[0:1], s[12:13], 8
                                        ; implicit-def: $vgpr20_vgpr21
	s_mov_b32 s17, 0
.LBB1_259:                              ;   in Loop: Header=BB1_232 Depth=1
	global_load_b64 v[20:21], v13, s[12:13]
	s_add_co_i32 s17, s16, -8
.LBB1_260:                              ;   in Loop: Header=BB1_232 Depth=1
	s_delay_alu instid0(SALU_CYCLE_1)
	s_cmp_gt_u32 s17, 7
	s_cbranch_scc1 .LBB1_265
; %bb.261:                              ;   in Loop: Header=BB1_232 Depth=1
	v_mov_b64_e32 v[22:23], 0
	s_cmp_eq_u32 s17, 0
	s_cbranch_scc1 .LBB1_264
; %bb.262:                              ;   in Loop: Header=BB1_232 Depth=1
	s_wait_xcnt 0x0
	s_mov_b64 s[12:13], 0
	s_mov_b64 s[14:15], 0
.LBB1_263:                              ;   Parent Loop BB1_232 Depth=1
                                        ; =>  This Inner Loop Header: Depth=2
	s_wait_xcnt 0x0
	s_add_nc_u64 s[18:19], s[0:1], s[14:15]
	s_add_nc_u64 s[14:15], s[14:15], 1
	global_load_u8 v1, v13, s[18:19]
	s_cmp_lg_u32 s17, s14
	s_wait_loadcnt 0x0
	v_and_b32_e32 v12, 0xffff, v1
	s_delay_alu instid0(VALU_DEP_1) | instskip(SKIP_1) | instid1(VALU_DEP_1)
	v_lshlrev_b64_e32 v[24:25], s12, v[12:13]
	s_add_nc_u64 s[12:13], s[12:13], 8
	v_or_b32_e32 v22, v24, v22
	s_delay_alu instid0(VALU_DEP_2)
	v_or_b32_e32 v23, v25, v23
	s_cbranch_scc1 .LBB1_263
.LBB1_264:                              ;   in Loop: Header=BB1_232 Depth=1
	s_wait_xcnt 0x0
	s_mov_b64 s[12:13], s[0:1]
	s_mov_b32 s16, 0
	s_cbranch_execz .LBB1_266
	s_branch .LBB1_267
.LBB1_265:                              ;   in Loop: Header=BB1_232 Depth=1
	s_wait_xcnt 0x0
	s_add_nc_u64 s[12:13], s[0:1], 8
	s_mov_b32 s16, 0
.LBB1_266:                              ;   in Loop: Header=BB1_232 Depth=1
	global_load_b64 v[22:23], v13, s[0:1]
	s_add_co_i32 s16, s17, -8
.LBB1_267:                              ;   in Loop: Header=BB1_232 Depth=1
	s_delay_alu instid0(SALU_CYCLE_1)
	s_cmp_gt_u32 s16, 7
	s_cbranch_scc1 .LBB1_272
; %bb.268:                              ;   in Loop: Header=BB1_232 Depth=1
	v_mov_b64_e32 v[24:25], 0
	s_cmp_eq_u32 s16, 0
	s_cbranch_scc1 .LBB1_271
; %bb.269:                              ;   in Loop: Header=BB1_232 Depth=1
	s_wait_xcnt 0x0
	s_mov_b64 s[0:1], 0
	s_mov_b64 s[14:15], 0
.LBB1_270:                              ;   Parent Loop BB1_232 Depth=1
                                        ; =>  This Inner Loop Header: Depth=2
	s_wait_xcnt 0x0
	s_add_nc_u64 s[18:19], s[12:13], s[14:15]
	s_add_nc_u64 s[14:15], s[14:15], 1
	global_load_u8 v1, v13, s[18:19]
	s_cmp_lg_u32 s16, s14
	s_wait_loadcnt 0x0
	v_and_b32_e32 v12, 0xffff, v1
	s_delay_alu instid0(VALU_DEP_1) | instskip(SKIP_1) | instid1(VALU_DEP_1)
	v_lshlrev_b64_e32 v[26:27], s0, v[12:13]
	s_add_nc_u64 s[0:1], s[0:1], 8
	v_or_b32_e32 v24, v26, v24
	s_delay_alu instid0(VALU_DEP_2)
	v_or_b32_e32 v25, v27, v25
	s_cbranch_scc1 .LBB1_270
.LBB1_271:                              ;   in Loop: Header=BB1_232 Depth=1
	s_wait_xcnt 0x0
	s_mov_b64 s[0:1], s[12:13]
	s_mov_b32 s17, 0
	s_cbranch_execz .LBB1_273
	s_branch .LBB1_274
.LBB1_272:                              ;   in Loop: Header=BB1_232 Depth=1
	s_wait_xcnt 0x0
	s_add_nc_u64 s[0:1], s[12:13], 8
                                        ; implicit-def: $vgpr24_vgpr25
	s_mov_b32 s17, 0
.LBB1_273:                              ;   in Loop: Header=BB1_232 Depth=1
	global_load_b64 v[24:25], v13, s[12:13]
	s_add_co_i32 s17, s16, -8
.LBB1_274:                              ;   in Loop: Header=BB1_232 Depth=1
	s_delay_alu instid0(SALU_CYCLE_1)
	s_cmp_gt_u32 s17, 7
	s_cbranch_scc1 .LBB1_279
; %bb.275:                              ;   in Loop: Header=BB1_232 Depth=1
	v_mov_b64_e32 v[26:27], 0
	s_cmp_eq_u32 s17, 0
	s_cbranch_scc1 .LBB1_278
; %bb.276:                              ;   in Loop: Header=BB1_232 Depth=1
	s_wait_xcnt 0x0
	s_mov_b64 s[12:13], 0
	s_mov_b64 s[14:15], s[0:1]
.LBB1_277:                              ;   Parent Loop BB1_232 Depth=1
                                        ; =>  This Inner Loop Header: Depth=2
	global_load_u8 v1, v13, s[14:15]
	s_add_co_i32 s17, s17, -1
	s_wait_xcnt 0x0
	s_add_nc_u64 s[14:15], s[14:15], 1
	s_cmp_lg_u32 s17, 0
	s_wait_loadcnt 0x0
	v_and_b32_e32 v12, 0xffff, v1
	s_delay_alu instid0(VALU_DEP_1) | instskip(SKIP_1) | instid1(VALU_DEP_1)
	v_lshlrev_b64_e32 v[28:29], s12, v[12:13]
	s_add_nc_u64 s[12:13], s[12:13], 8
	v_or_b32_e32 v26, v28, v26
	s_delay_alu instid0(VALU_DEP_2)
	v_or_b32_e32 v27, v29, v27
	s_cbranch_scc1 .LBB1_277
.LBB1_278:                              ;   in Loop: Header=BB1_232 Depth=1
	s_wait_xcnt 0x0
	s_cbranch_execz .LBB1_280
	s_branch .LBB1_281
.LBB1_279:                              ;   in Loop: Header=BB1_232 Depth=1
	s_wait_xcnt 0x0
.LBB1_280:                              ;   in Loop: Header=BB1_232 Depth=1
	global_load_b64 v[26:27], v13, s[0:1]
.LBB1_281:                              ;   in Loop: Header=BB1_232 Depth=1
	s_wait_xcnt 0x0
	v_readfirstlane_b32 s0, v3
	v_mov_b64_e32 v[32:33], 0
	s_delay_alu instid0(VALU_DEP_2)
	v_cmp_eq_u32_e64 s0, s0, v3
	s_and_saveexec_b32 s1, s0
	s_cbranch_execz .LBB1_287
; %bb.282:                              ;   in Loop: Header=BB1_232 Depth=1
	global_load_b64 v[30:31], v13, s[2:3] offset:24 scope:SCOPE_SYS
	s_wait_loadcnt 0x0
	global_inv scope:SCOPE_SYS
	s_clause 0x1
	global_load_b64 v[28:29], v13, s[2:3] offset:40
	global_load_b64 v[32:33], v13, s[2:3]
	s_mov_b32 s12, exec_lo
	s_wait_loadcnt 0x1
	v_and_b32_e32 v28, v28, v30
	v_and_b32_e32 v29, v29, v31
	s_delay_alu instid0(VALU_DEP_1) | instskip(SKIP_1) | instid1(VALU_DEP_1)
	v_mul_u64_e32 v[28:29], 24, v[28:29]
	s_wait_loadcnt 0x0
	v_add_nc_u64_e32 v[28:29], v[32:33], v[28:29]
	global_load_b64 v[28:29], v[28:29], off scope:SCOPE_SYS
	s_wait_xcnt 0x0
	s_wait_loadcnt 0x0
	global_atomic_cmpswap_b64 v[32:33], v13, v[28:31], s[2:3] offset:24 th:TH_ATOMIC_RETURN scope:SCOPE_SYS
	s_wait_loadcnt 0x0
	global_inv scope:SCOPE_SYS
	s_wait_xcnt 0x0
	v_cmpx_ne_u64_e64 v[32:33], v[30:31]
	s_cbranch_execz .LBB1_286
; %bb.283:                              ;   in Loop: Header=BB1_232 Depth=1
	s_mov_b32 s13, 0
.LBB1_284:                              ;   Parent Loop BB1_232 Depth=1
                                        ; =>  This Inner Loop Header: Depth=2
	s_sleep 1
	s_clause 0x1
	global_load_b64 v[28:29], v13, s[2:3] offset:40
	global_load_b64 v[34:35], v13, s[2:3]
	v_mov_b64_e32 v[30:31], v[32:33]
	s_wait_loadcnt 0x1
	s_delay_alu instid0(VALU_DEP_1) | instskip(SKIP_1) | instid1(VALU_DEP_1)
	v_and_b32_e32 v1, v28, v30
	s_wait_loadcnt 0x0
	v_mad_nc_u64_u32 v[32:33], v1, 24, v[34:35]
	s_delay_alu instid0(VALU_DEP_3) | instskip(NEXT) | instid1(VALU_DEP_1)
	v_and_b32_e32 v1, v29, v31
	v_mad_u32 v33, v1, 24, v33
	global_load_b64 v[28:29], v[32:33], off scope:SCOPE_SYS
	s_wait_xcnt 0x0
	s_wait_loadcnt 0x0
	global_atomic_cmpswap_b64 v[32:33], v13, v[28:31], s[2:3] offset:24 th:TH_ATOMIC_RETURN scope:SCOPE_SYS
	s_wait_loadcnt 0x0
	global_inv scope:SCOPE_SYS
	v_cmp_eq_u64_e32 vcc_lo, v[32:33], v[30:31]
	s_or_b32 s13, vcc_lo, s13
	s_wait_xcnt 0x0
	s_and_not1_b32 exec_lo, exec_lo, s13
	s_cbranch_execnz .LBB1_284
; %bb.285:                              ;   in Loop: Header=BB1_232 Depth=1
	s_or_b32 exec_lo, exec_lo, s13
.LBB1_286:                              ;   in Loop: Header=BB1_232 Depth=1
	s_delay_alu instid0(SALU_CYCLE_1)
	s_or_b32 exec_lo, exec_lo, s12
.LBB1_287:                              ;   in Loop: Header=BB1_232 Depth=1
	s_delay_alu instid0(SALU_CYCLE_1)
	s_or_b32 exec_lo, exec_lo, s1
	s_clause 0x1
	global_load_b64 v[34:35], v13, s[2:3] offset:40
	global_load_b128 v[28:31], v13, s[2:3]
	v_readfirstlane_b32 s12, v32
	v_readfirstlane_b32 s13, v33
	s_mov_b32 s1, exec_lo
	s_wait_loadcnt 0x1
	v_and_b32_e32 v34, s12, v34
	v_and_b32_e32 v35, s13, v35
	s_delay_alu instid0(VALU_DEP_1) | instskip(SKIP_1) | instid1(VALU_DEP_1)
	v_mul_u64_e32 v[32:33], 24, v[34:35]
	s_wait_loadcnt 0x0
	v_add_nc_u64_e32 v[32:33], v[28:29], v[32:33]
	s_wait_xcnt 0x0
	s_and_saveexec_b32 s14, s0
	s_cbranch_execz .LBB1_289
; %bb.288:                              ;   in Loop: Header=BB1_232 Depth=1
	v_mov_b32_e32 v12, s1
	global_store_b128 v[32:33], v[12:15], off offset:8
.LBB1_289:                              ;   in Loop: Header=BB1_232 Depth=1
	s_wait_xcnt 0x0
	s_or_b32 exec_lo, exec_lo, s14
	v_cmp_lt_u64_e64 vcc_lo, s[8:9], 57
	v_lshlrev_b64_e32 v[34:35], 12, v[34:35]
	v_and_b32_e32 v5, 0xffffff1f, v8
	s_lshl_b32 s1, s10, 2
	s_delay_alu instid0(SALU_CYCLE_1) | instskip(SKIP_1) | instid1(VALU_DEP_3)
	s_add_co_i32 s1, s1, 28
	v_cndmask_b32_e32 v1, 0, v0, vcc_lo
	v_add_nc_u64_e32 v[30:31], v[30:31], v[34:35]
	s_delay_alu instid0(VALU_DEP_2) | instskip(NEXT) | instid1(VALU_DEP_2)
	v_or_b32_e32 v1, v5, v1
	v_readfirstlane_b32 s14, v30
	s_delay_alu instid0(VALU_DEP_3) | instskip(NEXT) | instid1(VALU_DEP_3)
	v_readfirstlane_b32 s15, v31
	v_and_or_b32 v8, 0x1e0, s1, v1
	s_clause 0x3
	global_store_b128 v4, v[8:11], s[14:15]
	global_store_b128 v4, v[16:19], s[14:15] offset:16
	global_store_b128 v4, v[20:23], s[14:15] offset:32
	;; [unrolled: 1-line block ×3, first 2 shown]
	s_wait_xcnt 0x0
	s_and_saveexec_b32 s1, s0
	s_cbranch_execz .LBB1_297
; %bb.290:                              ;   in Loop: Header=BB1_232 Depth=1
	s_clause 0x1
	global_load_b64 v[20:21], v13, s[2:3] offset:32 scope:SCOPE_SYS
	global_load_b64 v[8:9], v13, s[2:3] offset:40
	s_mov_b32 s14, exec_lo
	v_dual_mov_b32 v18, s12 :: v_dual_mov_b32 v19, s13
	s_wait_loadcnt 0x0
	v_and_b32_e32 v9, s13, v9
	v_and_b32_e32 v8, s12, v8
	s_delay_alu instid0(VALU_DEP_1) | instskip(NEXT) | instid1(VALU_DEP_1)
	v_mul_u64_e32 v[8:9], 24, v[8:9]
	v_add_nc_u64_e32 v[16:17], v[28:29], v[8:9]
	global_store_b64 v[16:17], v[20:21], off
	global_wb scope:SCOPE_SYS
	s_wait_storecnt 0x0
	s_wait_xcnt 0x0
	global_atomic_cmpswap_b64 v[10:11], v13, v[18:21], s[2:3] offset:32 th:TH_ATOMIC_RETURN scope:SCOPE_SYS
	s_wait_loadcnt 0x0
	v_cmpx_ne_u64_e64 v[10:11], v[20:21]
	s_cbranch_execz .LBB1_293
; %bb.291:                              ;   in Loop: Header=BB1_232 Depth=1
	s_mov_b32 s15, 0
.LBB1_292:                              ;   Parent Loop BB1_232 Depth=1
                                        ; =>  This Inner Loop Header: Depth=2
	v_dual_mov_b32 v8, s12 :: v_dual_mov_b32 v9, s13
	s_sleep 1
	global_store_b64 v[16:17], v[10:11], off
	global_wb scope:SCOPE_SYS
	s_wait_storecnt 0x0
	s_wait_xcnt 0x0
	global_atomic_cmpswap_b64 v[8:9], v13, v[8:11], s[2:3] offset:32 th:TH_ATOMIC_RETURN scope:SCOPE_SYS
	s_wait_loadcnt 0x0
	v_cmp_eq_u64_e32 vcc_lo, v[8:9], v[10:11]
	v_mov_b64_e32 v[10:11], v[8:9]
	s_or_b32 s15, vcc_lo, s15
	s_delay_alu instid0(SALU_CYCLE_1)
	s_and_not1_b32 exec_lo, exec_lo, s15
	s_cbranch_execnz .LBB1_292
.LBB1_293:                              ;   in Loop: Header=BB1_232 Depth=1
	s_or_b32 exec_lo, exec_lo, s14
	global_load_b64 v[8:9], v13, s[2:3] offset:16
	s_mov_b32 s15, exec_lo
	s_mov_b32 s14, exec_lo
	v_mbcnt_lo_u32_b32 v1, s15, 0
	s_wait_xcnt 0x0
	s_delay_alu instid0(VALU_DEP_1)
	v_cmpx_eq_u32_e32 0, v1
	s_cbranch_execz .LBB1_295
; %bb.294:                              ;   in Loop: Header=BB1_232 Depth=1
	s_bcnt1_i32_b32 s15, s15
	s_delay_alu instid0(SALU_CYCLE_1)
	v_mov_b32_e32 v12, s15
	global_wb scope:SCOPE_SYS
	s_wait_loadcnt 0x0
	s_wait_storecnt 0x0
	global_atomic_add_u64 v[8:9], v[12:13], off offset:8 scope:SCOPE_SYS
.LBB1_295:                              ;   in Loop: Header=BB1_232 Depth=1
	s_wait_xcnt 0x0
	s_or_b32 exec_lo, exec_lo, s14
	s_wait_loadcnt 0x0
	global_load_b64 v[10:11], v[8:9], off offset:16
	s_wait_loadcnt 0x0
	v_cmp_eq_u64_e32 vcc_lo, 0, v[10:11]
	s_cbranch_vccnz .LBB1_297
; %bb.296:                              ;   in Loop: Header=BB1_232 Depth=1
	global_load_b32 v12, v[8:9], off offset:24
	s_wait_loadcnt 0x0
	v_readfirstlane_b32 s14, v12
	global_wb scope:SCOPE_SYS
	s_wait_storecnt 0x0
	s_wait_xcnt 0x0
	global_store_b64 v[10:11], v[12:13], off scope:SCOPE_SYS
	s_and_b32 m0, s14, 0xffffff
	s_sendmsg sendmsg(MSG_INTERRUPT)
.LBB1_297:                              ;   in Loop: Header=BB1_232 Depth=1
	s_wait_xcnt 0x0
	s_or_b32 exec_lo, exec_lo, s1
	v_mov_b32_e32 v5, v13
	s_delay_alu instid0(VALU_DEP_1)
	v_add_nc_u64_e32 v[8:9], v[30:31], v[4:5]
	s_branch .LBB1_301
.LBB1_298:                              ;   in Loop: Header=BB1_301 Depth=2
	s_wait_xcnt 0x0
	s_or_b32 exec_lo, exec_lo, s1
	s_delay_alu instid0(VALU_DEP_1)
	v_readfirstlane_b32 s1, v1
	s_cmp_eq_u32 s1, 0
	s_cbranch_scc1 .LBB1_300
; %bb.299:                              ;   in Loop: Header=BB1_301 Depth=2
	s_sleep 1
	s_cbranch_execnz .LBB1_301
	s_branch .LBB1_303
.LBB1_300:                              ;   in Loop: Header=BB1_232 Depth=1
	s_branch .LBB1_303
.LBB1_301:                              ;   Parent Loop BB1_232 Depth=1
                                        ; =>  This Inner Loop Header: Depth=2
	v_mov_b32_e32 v1, 1
	s_and_saveexec_b32 s1, s0
	s_cbranch_execz .LBB1_298
; %bb.302:                              ;   in Loop: Header=BB1_301 Depth=2
	global_load_b32 v1, v[32:33], off offset:20 scope:SCOPE_SYS
	s_wait_loadcnt 0x0
	global_inv scope:SCOPE_SYS
	v_and_b32_e32 v1, 1, v1
	s_branch .LBB1_298
.LBB1_303:                              ;   in Loop: Header=BB1_232 Depth=1
	global_load_b64 v[8:9], v[8:9], off
	s_wait_xcnt 0x0
	s_and_saveexec_b32 s14, s0
	s_cbranch_execz .LBB1_231
; %bb.304:                              ;   in Loop: Header=BB1_232 Depth=1
	s_clause 0x2
	global_load_b64 v[10:11], v13, s[2:3] offset:40
	global_load_b64 v[20:21], v13, s[2:3] offset:24 scope:SCOPE_SYS
	global_load_b64 v[16:17], v13, s[2:3]
	s_wait_loadcnt 0x2
	v_readfirstlane_b32 s16, v10
	v_readfirstlane_b32 s17, v11
	s_add_nc_u64 s[0:1], s[16:17], 1
	s_delay_alu instid0(SALU_CYCLE_1) | instskip(NEXT) | instid1(SALU_CYCLE_1)
	s_add_nc_u64 s[12:13], s[0:1], s[12:13]
	s_cmp_eq_u64 s[12:13], 0
	s_cselect_b32 s1, s1, s13
	s_cselect_b32 s0, s0, s12
	s_delay_alu instid0(SALU_CYCLE_1) | instskip(SKIP_1) | instid1(SALU_CYCLE_1)
	v_dual_mov_b32 v19, s1 :: v_dual_mov_b32 v18, s0
	s_and_b64 s[12:13], s[0:1], s[16:17]
	s_mul_u64 s[12:13], s[12:13], 24
	s_wait_loadcnt 0x0
	v_add_nc_u64_e32 v[10:11], s[12:13], v[16:17]
	global_store_b64 v[10:11], v[20:21], off
	global_wb scope:SCOPE_SYS
	s_wait_storecnt 0x0
	s_wait_xcnt 0x0
	global_atomic_cmpswap_b64 v[18:19], v13, v[18:21], s[2:3] offset:24 th:TH_ATOMIC_RETURN scope:SCOPE_SYS
	s_wait_loadcnt 0x0
	v_cmp_ne_u64_e32 vcc_lo, v[18:19], v[20:21]
	s_and_b32 exec_lo, exec_lo, vcc_lo
	s_cbranch_execz .LBB1_231
; %bb.305:                              ;   in Loop: Header=BB1_232 Depth=1
	s_mov_b32 s12, 0
.LBB1_306:                              ;   Parent Loop BB1_232 Depth=1
                                        ; =>  This Inner Loop Header: Depth=2
	v_dual_mov_b32 v16, s0 :: v_dual_mov_b32 v17, s1
	s_sleep 1
	global_store_b64 v[10:11], v[18:19], off
	global_wb scope:SCOPE_SYS
	s_wait_storecnt 0x0
	s_wait_xcnt 0x0
	global_atomic_cmpswap_b64 v[16:17], v13, v[16:19], s[2:3] offset:24 th:TH_ATOMIC_RETURN scope:SCOPE_SYS
	s_wait_loadcnt 0x0
	v_cmp_eq_u64_e32 vcc_lo, v[16:17], v[18:19]
	v_mov_b64_e32 v[18:19], v[16:17]
	s_or_b32 s12, vcc_lo, s12
	s_delay_alu instid0(SALU_CYCLE_1)
	s_and_not1_b32 exec_lo, exec_lo, s12
	s_cbranch_execnz .LBB1_306
	s_branch .LBB1_231
.LBB1_307:
	s_branch .LBB1_336
.LBB1_308:
                                        ; implicit-def: $vgpr8_vgpr9
	s_cbranch_execz .LBB1_336
; %bb.309:
	v_readfirstlane_b32 s0, v3
	v_mov_b64_e32 v[0:1], 0
	s_delay_alu instid0(VALU_DEP_2)
	v_cmp_eq_u32_e64 s0, s0, v3
	s_and_saveexec_b32 s1, s0
	s_cbranch_execz .LBB1_315
; %bb.310:
	v_mov_b32_e32 v5, 0
	s_mov_b32 s6, exec_lo
	global_load_b64 v[10:11], v5, s[2:3] offset:24 scope:SCOPE_SYS
	s_wait_loadcnt 0x0
	global_inv scope:SCOPE_SYS
	s_clause 0x1
	global_load_b64 v[0:1], v5, s[2:3] offset:40
	global_load_b64 v[8:9], v5, s[2:3]
	s_wait_loadcnt 0x1
	v_and_b32_e32 v0, v0, v10
	v_and_b32_e32 v1, v1, v11
	s_delay_alu instid0(VALU_DEP_1) | instskip(SKIP_1) | instid1(VALU_DEP_1)
	v_mul_u64_e32 v[0:1], 24, v[0:1]
	s_wait_loadcnt 0x0
	v_add_nc_u64_e32 v[0:1], v[8:9], v[0:1]
	global_load_b64 v[8:9], v[0:1], off scope:SCOPE_SYS
	s_wait_xcnt 0x0
	s_wait_loadcnt 0x0
	global_atomic_cmpswap_b64 v[0:1], v5, v[8:11], s[2:3] offset:24 th:TH_ATOMIC_RETURN scope:SCOPE_SYS
	s_wait_loadcnt 0x0
	global_inv scope:SCOPE_SYS
	s_wait_xcnt 0x0
	v_cmpx_ne_u64_e64 v[0:1], v[10:11]
	s_cbranch_execz .LBB1_314
; %bb.311:
	s_mov_b32 s7, 0
.LBB1_312:                              ; =>This Inner Loop Header: Depth=1
	s_sleep 1
	s_clause 0x1
	global_load_b64 v[8:9], v5, s[2:3] offset:40
	global_load_b64 v[12:13], v5, s[2:3]
	v_mov_b64_e32 v[10:11], v[0:1]
	s_wait_loadcnt 0x1
	s_delay_alu instid0(VALU_DEP_1) | instskip(NEXT) | instid1(VALU_DEP_2)
	v_and_b32_e32 v0, v8, v10
	v_and_b32_e32 v8, v9, v11
	s_wait_loadcnt 0x0
	s_delay_alu instid0(VALU_DEP_2) | instskip(NEXT) | instid1(VALU_DEP_1)
	v_mad_nc_u64_u32 v[0:1], v0, 24, v[12:13]
	v_mad_u32 v1, v8, 24, v1
	global_load_b64 v[8:9], v[0:1], off scope:SCOPE_SYS
	s_wait_xcnt 0x0
	s_wait_loadcnt 0x0
	global_atomic_cmpswap_b64 v[0:1], v5, v[8:11], s[2:3] offset:24 th:TH_ATOMIC_RETURN scope:SCOPE_SYS
	s_wait_loadcnt 0x0
	global_inv scope:SCOPE_SYS
	v_cmp_eq_u64_e32 vcc_lo, v[0:1], v[10:11]
	s_or_b32 s7, vcc_lo, s7
	s_wait_xcnt 0x0
	s_and_not1_b32 exec_lo, exec_lo, s7
	s_cbranch_execnz .LBB1_312
; %bb.313:
	s_or_b32 exec_lo, exec_lo, s7
.LBB1_314:
	s_delay_alu instid0(SALU_CYCLE_1)
	s_or_b32 exec_lo, exec_lo, s6
.LBB1_315:
	s_delay_alu instid0(SALU_CYCLE_1)
	s_or_b32 exec_lo, exec_lo, s1
	v_readfirstlane_b32 s6, v0
	v_mov_b32_e32 v5, 0
	v_readfirstlane_b32 s7, v1
	s_mov_b32 s1, exec_lo
	s_wait_loadcnt 0x0
	s_clause 0x1
	global_load_b64 v[8:9], v5, s[2:3] offset:40
	global_load_b128 v[10:13], v5, s[2:3]
	s_wait_loadcnt 0x1
	v_and_b32_e32 v8, s6, v8
	v_and_b32_e32 v9, s7, v9
	s_delay_alu instid0(VALU_DEP_1) | instskip(SKIP_1) | instid1(VALU_DEP_1)
	v_mul_u64_e32 v[0:1], 24, v[8:9]
	s_wait_loadcnt 0x0
	v_add_nc_u64_e32 v[0:1], v[10:11], v[0:1]
	s_wait_xcnt 0x0
	s_and_saveexec_b32 s8, s0
	s_cbranch_execz .LBB1_317
; %bb.316:
	v_mov_b64_e32 v[16:17], 0x100000002
	v_dual_mov_b32 v14, s1 :: v_dual_mov_b32 v15, v5
	global_store_b128 v[0:1], v[14:17], off offset:8
.LBB1_317:
	s_wait_xcnt 0x0
	s_or_b32 exec_lo, exec_lo, s8
	v_lshlrev_b64_e32 v[8:9], 12, v[8:9]
	s_mov_b32 s8, 0
	v_and_or_b32 v6, 0xffffff1f, v6, 32
	s_mov_b32 s10, s8
	s_mov_b32 s11, s8
	;; [unrolled: 1-line block ×3, first 2 shown]
	v_mov_b64_e32 v[16:17], s[10:11]
	v_add_nc_u64_e32 v[12:13], v[12:13], v[8:9]
	v_mov_b64_e32 v[14:15], s[8:9]
	v_dual_mov_b32 v8, v5 :: v_dual_mov_b32 v9, v5
	s_delay_alu instid0(VALU_DEP_3) | instskip(NEXT) | instid1(VALU_DEP_4)
	v_readfirstlane_b32 s12, v12
	v_readfirstlane_b32 s13, v13
	s_clause 0x3
	global_store_b128 v4, v[6:9], s[12:13]
	global_store_b128 v4, v[14:17], s[12:13] offset:16
	global_store_b128 v4, v[14:17], s[12:13] offset:32
	;; [unrolled: 1-line block ×3, first 2 shown]
	s_wait_xcnt 0x0
	s_and_saveexec_b32 s1, s0
	s_cbranch_execz .LBB1_325
; %bb.318:
	v_dual_mov_b32 v14, 0 :: v_dual_mov_b32 v17, s7
	s_mov_b32 s8, exec_lo
	s_clause 0x1
	global_load_b64 v[18:19], v14, s[2:3] offset:32 scope:SCOPE_SYS
	global_load_b64 v[6:7], v14, s[2:3] offset:40
	s_wait_loadcnt 0x0
	v_dual_mov_b32 v16, s6 :: v_dual_bitop2_b32 v7, s7, v7 bitop3:0x40
	v_and_b32_e32 v6, s6, v6
	s_delay_alu instid0(VALU_DEP_1) | instskip(NEXT) | instid1(VALU_DEP_1)
	v_mul_u64_e32 v[6:7], 24, v[6:7]
	v_add_nc_u64_e32 v[10:11], v[10:11], v[6:7]
	global_store_b64 v[10:11], v[18:19], off
	global_wb scope:SCOPE_SYS
	s_wait_storecnt 0x0
	s_wait_xcnt 0x0
	global_atomic_cmpswap_b64 v[8:9], v14, v[16:19], s[2:3] offset:32 th:TH_ATOMIC_RETURN scope:SCOPE_SYS
	s_wait_loadcnt 0x0
	v_cmpx_ne_u64_e64 v[8:9], v[18:19]
	s_cbranch_execz .LBB1_321
; %bb.319:
	s_mov_b32 s9, 0
.LBB1_320:                              ; =>This Inner Loop Header: Depth=1
	v_dual_mov_b32 v6, s6 :: v_dual_mov_b32 v7, s7
	s_sleep 1
	global_store_b64 v[10:11], v[8:9], off
	global_wb scope:SCOPE_SYS
	s_wait_storecnt 0x0
	s_wait_xcnt 0x0
	global_atomic_cmpswap_b64 v[6:7], v14, v[6:9], s[2:3] offset:32 th:TH_ATOMIC_RETURN scope:SCOPE_SYS
	s_wait_loadcnt 0x0
	v_cmp_eq_u64_e32 vcc_lo, v[6:7], v[8:9]
	v_mov_b64_e32 v[8:9], v[6:7]
	s_or_b32 s9, vcc_lo, s9
	s_delay_alu instid0(SALU_CYCLE_1)
	s_and_not1_b32 exec_lo, exec_lo, s9
	s_cbranch_execnz .LBB1_320
.LBB1_321:
	s_or_b32 exec_lo, exec_lo, s8
	v_mov_b32_e32 v9, 0
	s_mov_b32 s9, exec_lo
	s_mov_b32 s8, exec_lo
	v_mbcnt_lo_u32_b32 v8, s9, 0
	global_load_b64 v[6:7], v9, s[2:3] offset:16
	s_wait_xcnt 0x0
	v_cmpx_eq_u32_e32 0, v8
	s_cbranch_execz .LBB1_323
; %bb.322:
	s_bcnt1_i32_b32 s9, s9
	s_delay_alu instid0(SALU_CYCLE_1)
	v_mov_b32_e32 v8, s9
	global_wb scope:SCOPE_SYS
	s_wait_loadcnt 0x0
	s_wait_storecnt 0x0
	global_atomic_add_u64 v[6:7], v[8:9], off offset:8 scope:SCOPE_SYS
.LBB1_323:
	s_wait_xcnt 0x0
	s_or_b32 exec_lo, exec_lo, s8
	s_wait_loadcnt 0x0
	global_load_b64 v[8:9], v[6:7], off offset:16
	s_wait_loadcnt 0x0
	v_cmp_eq_u64_e32 vcc_lo, 0, v[8:9]
	s_cbranch_vccnz .LBB1_325
; %bb.324:
	global_load_b32 v6, v[6:7], off offset:24
	s_wait_xcnt 0x0
	v_mov_b32_e32 v7, 0
	s_wait_loadcnt 0x0
	v_readfirstlane_b32 s8, v6
	global_wb scope:SCOPE_SYS
	s_wait_storecnt 0x0
	global_store_b64 v[8:9], v[6:7], off scope:SCOPE_SYS
	s_and_b32 m0, s8, 0xffffff
	s_sendmsg sendmsg(MSG_INTERRUPT)
.LBB1_325:
	s_wait_xcnt 0x0
	s_or_b32 exec_lo, exec_lo, s1
	v_add_nc_u64_e32 v[6:7], v[12:13], v[4:5]
	s_branch .LBB1_329
.LBB1_326:                              ;   in Loop: Header=BB1_329 Depth=1
	s_wait_xcnt 0x0
	s_or_b32 exec_lo, exec_lo, s1
	s_delay_alu instid0(VALU_DEP_1)
	v_readfirstlane_b32 s1, v5
	s_cmp_eq_u32 s1, 0
	s_cbranch_scc1 .LBB1_328
; %bb.327:                              ;   in Loop: Header=BB1_329 Depth=1
	s_sleep 1
	s_cbranch_execnz .LBB1_329
	s_branch .LBB1_331
.LBB1_328:
	s_branch .LBB1_331
.LBB1_329:                              ; =>This Inner Loop Header: Depth=1
	v_mov_b32_e32 v5, 1
	s_and_saveexec_b32 s1, s0
	s_cbranch_execz .LBB1_326
; %bb.330:                              ;   in Loop: Header=BB1_329 Depth=1
	global_load_b32 v5, v[0:1], off offset:20 scope:SCOPE_SYS
	s_wait_loadcnt 0x0
	global_inv scope:SCOPE_SYS
	v_and_b32_e32 v5, 1, v5
	s_branch .LBB1_326
.LBB1_331:
	global_load_b64 v[8:9], v[6:7], off
	s_wait_xcnt 0x0
	s_and_saveexec_b32 s8, s0
	s_cbranch_execz .LBB1_335
; %bb.332:
	v_mov_b32_e32 v5, 0
	s_clause 0x2
	global_load_b64 v[0:1], v5, s[2:3] offset:40
	global_load_b64 v[14:15], v5, s[2:3] offset:24 scope:SCOPE_SYS
	global_load_b64 v[6:7], v5, s[2:3]
	s_wait_loadcnt 0x2
	v_readfirstlane_b32 s10, v0
	v_readfirstlane_b32 s11, v1
	s_add_nc_u64 s[0:1], s[10:11], 1
	s_delay_alu instid0(SALU_CYCLE_1) | instskip(NEXT) | instid1(SALU_CYCLE_1)
	s_add_nc_u64 s[6:7], s[0:1], s[6:7]
	s_cmp_eq_u64 s[6:7], 0
	s_cselect_b32 s1, s1, s7
	s_cselect_b32 s0, s0, s6
	v_mov_b32_e32 v13, s1
	s_and_b64 s[6:7], s[0:1], s[10:11]
	v_mov_b32_e32 v12, s0
	s_mul_u64 s[6:7], s[6:7], 24
	s_wait_loadcnt 0x0
	v_add_nc_u64_e32 v[0:1], s[6:7], v[6:7]
	global_store_b64 v[0:1], v[14:15], off
	global_wb scope:SCOPE_SYS
	s_wait_storecnt 0x0
	s_wait_xcnt 0x0
	global_atomic_cmpswap_b64 v[12:13], v5, v[12:15], s[2:3] offset:24 th:TH_ATOMIC_RETURN scope:SCOPE_SYS
	s_wait_loadcnt 0x0
	v_cmp_ne_u64_e32 vcc_lo, v[12:13], v[14:15]
	s_and_b32 exec_lo, exec_lo, vcc_lo
	s_cbranch_execz .LBB1_335
; %bb.333:
	s_mov_b32 s6, 0
.LBB1_334:                              ; =>This Inner Loop Header: Depth=1
	v_dual_mov_b32 v10, s0 :: v_dual_mov_b32 v11, s1
	s_sleep 1
	global_store_b64 v[0:1], v[12:13], off
	global_wb scope:SCOPE_SYS
	s_wait_storecnt 0x0
	s_wait_xcnt 0x0
	global_atomic_cmpswap_b64 v[6:7], v5, v[10:13], s[2:3] offset:24 th:TH_ATOMIC_RETURN scope:SCOPE_SYS
	s_wait_loadcnt 0x0
	v_cmp_eq_u64_e32 vcc_lo, v[6:7], v[12:13]
	v_mov_b64_e32 v[12:13], v[6:7]
	s_or_b32 s6, vcc_lo, s6
	s_delay_alu instid0(SALU_CYCLE_1)
	s_and_not1_b32 exec_lo, exec_lo, s6
	s_cbranch_execnz .LBB1_334
.LBB1_335:
	s_or_b32 exec_lo, exec_lo, s8
.LBB1_336:
	v_readfirstlane_b32 s0, v3
	v_mov_b64_e32 v[0:1], 0
	s_delay_alu instid0(VALU_DEP_2)
	v_cmp_eq_u32_e64 s0, s0, v3
	s_and_saveexec_b32 s1, s0
	s_cbranch_execz .LBB1_342
; %bb.337:
	v_mov_b32_e32 v5, 0
	s_mov_b32 s6, exec_lo
	global_load_b64 v[12:13], v5, s[2:3] offset:24 scope:SCOPE_SYS
	s_wait_loadcnt 0x0
	global_inv scope:SCOPE_SYS
	s_clause 0x1
	global_load_b64 v[0:1], v5, s[2:3] offset:40
	global_load_b64 v[6:7], v5, s[2:3]
	s_wait_loadcnt 0x1
	v_and_b32_e32 v0, v0, v12
	v_and_b32_e32 v1, v1, v13
	s_delay_alu instid0(VALU_DEP_1) | instskip(SKIP_1) | instid1(VALU_DEP_1)
	v_mul_u64_e32 v[0:1], 24, v[0:1]
	s_wait_loadcnt 0x0
	v_add_nc_u64_e32 v[0:1], v[6:7], v[0:1]
	global_load_b64 v[10:11], v[0:1], off scope:SCOPE_SYS
	s_wait_xcnt 0x0
	s_wait_loadcnt 0x0
	global_atomic_cmpswap_b64 v[0:1], v5, v[10:13], s[2:3] offset:24 th:TH_ATOMIC_RETURN scope:SCOPE_SYS
	s_wait_loadcnt 0x0
	global_inv scope:SCOPE_SYS
	s_wait_xcnt 0x0
	v_cmpx_ne_u64_e64 v[0:1], v[12:13]
	s_cbranch_execz .LBB1_341
; %bb.338:
	s_mov_b32 s7, 0
.LBB1_339:                              ; =>This Inner Loop Header: Depth=1
	s_sleep 1
	s_clause 0x1
	global_load_b64 v[6:7], v5, s[2:3] offset:40
	global_load_b64 v[10:11], v5, s[2:3]
	v_mov_b64_e32 v[12:13], v[0:1]
	s_wait_loadcnt 0x1
	s_delay_alu instid0(VALU_DEP_1) | instskip(NEXT) | instid1(VALU_DEP_2)
	v_and_b32_e32 v0, v6, v12
	v_and_b32_e32 v6, v7, v13
	s_wait_loadcnt 0x0
	s_delay_alu instid0(VALU_DEP_2) | instskip(NEXT) | instid1(VALU_DEP_1)
	v_mad_nc_u64_u32 v[0:1], v0, 24, v[10:11]
	v_mad_u32 v1, v6, 24, v1
	global_load_b64 v[10:11], v[0:1], off scope:SCOPE_SYS
	s_wait_xcnt 0x0
	s_wait_loadcnt 0x0
	global_atomic_cmpswap_b64 v[0:1], v5, v[10:13], s[2:3] offset:24 th:TH_ATOMIC_RETURN scope:SCOPE_SYS
	s_wait_loadcnt 0x0
	global_inv scope:SCOPE_SYS
	v_cmp_eq_u64_e32 vcc_lo, v[0:1], v[12:13]
	s_or_b32 s7, vcc_lo, s7
	s_wait_xcnt 0x0
	s_and_not1_b32 exec_lo, exec_lo, s7
	s_cbranch_execnz .LBB1_339
; %bb.340:
	s_or_b32 exec_lo, exec_lo, s7
.LBB1_341:
	s_delay_alu instid0(SALU_CYCLE_1)
	s_or_b32 exec_lo, exec_lo, s6
.LBB1_342:
	s_delay_alu instid0(SALU_CYCLE_1)
	s_or_b32 exec_lo, exec_lo, s1
	v_readfirstlane_b32 s6, v0
	v_mov_b32_e32 v5, 0
	v_readfirstlane_b32 s7, v1
	s_mov_b32 s1, exec_lo
	s_wait_loadcnt 0x0
	s_clause 0x1
	global_load_b64 v[6:7], v5, s[2:3] offset:40
	global_load_b128 v[12:15], v5, s[2:3]
	s_wait_loadcnt 0x1
	v_and_b32_e32 v6, s6, v6
	v_and_b32_e32 v7, s7, v7
	s_delay_alu instid0(VALU_DEP_1) | instskip(SKIP_1) | instid1(VALU_DEP_1)
	v_mul_u64_e32 v[0:1], 24, v[6:7]
	s_wait_loadcnt 0x0
	v_add_nc_u64_e32 v[0:1], v[12:13], v[0:1]
	s_wait_xcnt 0x0
	s_and_saveexec_b32 s8, s0
	s_cbranch_execz .LBB1_344
; %bb.343:
	v_mov_b64_e32 v[18:19], 0x100000002
	v_dual_mov_b32 v16, s1 :: v_dual_mov_b32 v17, v5
	global_store_b128 v[0:1], v[16:19], off offset:8
.LBB1_344:
	s_wait_xcnt 0x0
	s_or_b32 exec_lo, exec_lo, s8
	v_lshlrev_b64_e32 v[6:7], 12, v[6:7]
	s_mov_b32 s8, 0
	v_and_or_b32 v8, 0xffffff1f, v8, 32
	s_mov_b32 s10, s8
	s_mov_b32 s11, s8
	;; [unrolled: 1-line block ×3, first 2 shown]
	v_mov_b64_e32 v[18:19], s[10:11]
	v_add_nc_u64_e32 v[14:15], v[14:15], v[6:7]
	v_mov_b64_e32 v[16:17], s[8:9]
	v_dual_mov_b32 v10, 3 :: v_dual_mov_b32 v11, v5
	s_delay_alu instid0(VALU_DEP_3) | instskip(NEXT) | instid1(VALU_DEP_4)
	v_readfirstlane_b32 s12, v14
	v_readfirstlane_b32 s13, v15
	s_clause 0x3
	global_store_b128 v4, v[8:11], s[12:13]
	global_store_b128 v4, v[16:19], s[12:13] offset:16
	global_store_b128 v4, v[16:19], s[12:13] offset:32
	;; [unrolled: 1-line block ×3, first 2 shown]
	s_wait_xcnt 0x0
	s_and_saveexec_b32 s1, s0
	s_cbranch_execz .LBB1_352
; %bb.345:
	v_dual_mov_b32 v16, 0 :: v_dual_mov_b32 v19, s7
	s_mov_b32 s8, exec_lo
	s_clause 0x1
	global_load_b64 v[20:21], v16, s[2:3] offset:32 scope:SCOPE_SYS
	global_load_b64 v[6:7], v16, s[2:3] offset:40
	s_wait_loadcnt 0x0
	v_dual_mov_b32 v18, s6 :: v_dual_bitop2_b32 v7, s7, v7 bitop3:0x40
	v_and_b32_e32 v6, s6, v6
	s_delay_alu instid0(VALU_DEP_1) | instskip(NEXT) | instid1(VALU_DEP_1)
	v_mul_u64_e32 v[6:7], 24, v[6:7]
	v_add_nc_u64_e32 v[10:11], v[12:13], v[6:7]
	global_store_b64 v[10:11], v[20:21], off
	global_wb scope:SCOPE_SYS
	s_wait_storecnt 0x0
	s_wait_xcnt 0x0
	global_atomic_cmpswap_b64 v[8:9], v16, v[18:21], s[2:3] offset:32 th:TH_ATOMIC_RETURN scope:SCOPE_SYS
	s_wait_loadcnt 0x0
	v_cmpx_ne_u64_e64 v[8:9], v[20:21]
	s_cbranch_execz .LBB1_348
; %bb.346:
	s_mov_b32 s9, 0
.LBB1_347:                              ; =>This Inner Loop Header: Depth=1
	v_dual_mov_b32 v6, s6 :: v_dual_mov_b32 v7, s7
	s_sleep 1
	global_store_b64 v[10:11], v[8:9], off
	global_wb scope:SCOPE_SYS
	s_wait_storecnt 0x0
	s_wait_xcnt 0x0
	global_atomic_cmpswap_b64 v[6:7], v16, v[6:9], s[2:3] offset:32 th:TH_ATOMIC_RETURN scope:SCOPE_SYS
	s_wait_loadcnt 0x0
	v_cmp_eq_u64_e32 vcc_lo, v[6:7], v[8:9]
	v_mov_b64_e32 v[8:9], v[6:7]
	s_or_b32 s9, vcc_lo, s9
	s_delay_alu instid0(SALU_CYCLE_1)
	s_and_not1_b32 exec_lo, exec_lo, s9
	s_cbranch_execnz .LBB1_347
.LBB1_348:
	s_or_b32 exec_lo, exec_lo, s8
	v_mov_b32_e32 v9, 0
	s_mov_b32 s9, exec_lo
	s_mov_b32 s8, exec_lo
	v_mbcnt_lo_u32_b32 v8, s9, 0
	global_load_b64 v[6:7], v9, s[2:3] offset:16
	s_wait_xcnt 0x0
	v_cmpx_eq_u32_e32 0, v8
	s_cbranch_execz .LBB1_350
; %bb.349:
	s_bcnt1_i32_b32 s9, s9
	s_delay_alu instid0(SALU_CYCLE_1)
	v_mov_b32_e32 v8, s9
	global_wb scope:SCOPE_SYS
	s_wait_loadcnt 0x0
	s_wait_storecnt 0x0
	global_atomic_add_u64 v[6:7], v[8:9], off offset:8 scope:SCOPE_SYS
.LBB1_350:
	s_wait_xcnt 0x0
	s_or_b32 exec_lo, exec_lo, s8
	s_wait_loadcnt 0x0
	global_load_b64 v[8:9], v[6:7], off offset:16
	s_wait_loadcnt 0x0
	v_cmp_eq_u64_e32 vcc_lo, 0, v[8:9]
	s_cbranch_vccnz .LBB1_352
; %bb.351:
	global_load_b32 v6, v[6:7], off offset:24
	s_wait_xcnt 0x0
	v_mov_b32_e32 v7, 0
	s_wait_loadcnt 0x0
	v_readfirstlane_b32 s8, v6
	global_wb scope:SCOPE_SYS
	s_wait_storecnt 0x0
	global_store_b64 v[8:9], v[6:7], off scope:SCOPE_SYS
	s_and_b32 m0, s8, 0xffffff
	s_sendmsg sendmsg(MSG_INTERRUPT)
.LBB1_352:
	s_wait_xcnt 0x0
	s_or_b32 exec_lo, exec_lo, s1
	v_add_nc_u64_e32 v[6:7], v[14:15], v[4:5]
	s_branch .LBB1_356
.LBB1_353:                              ;   in Loop: Header=BB1_356 Depth=1
	s_wait_xcnt 0x0
	s_or_b32 exec_lo, exec_lo, s1
	s_delay_alu instid0(VALU_DEP_1)
	v_readfirstlane_b32 s1, v5
	s_cmp_eq_u32 s1, 0
	s_cbranch_scc1 .LBB1_355
; %bb.354:                              ;   in Loop: Header=BB1_356 Depth=1
	s_sleep 1
	s_cbranch_execnz .LBB1_356
	s_branch .LBB1_358
.LBB1_355:
	s_branch .LBB1_358
.LBB1_356:                              ; =>This Inner Loop Header: Depth=1
	v_mov_b32_e32 v5, 1
	s_and_saveexec_b32 s1, s0
	s_cbranch_execz .LBB1_353
; %bb.357:                              ;   in Loop: Header=BB1_356 Depth=1
	global_load_b32 v5, v[0:1], off offset:20 scope:SCOPE_SYS
	s_wait_loadcnt 0x0
	global_inv scope:SCOPE_SYS
	v_and_b32_e32 v5, 1, v5
	s_branch .LBB1_353
.LBB1_358:
	global_load_b64 v[0:1], v[6:7], off
	s_wait_xcnt 0x0
	s_and_saveexec_b32 s8, s0
	s_cbranch_execz .LBB1_362
; %bb.359:
	v_mov_b32_e32 v5, 0
	s_clause 0x2
	global_load_b64 v[6:7], v5, s[2:3] offset:40
	global_load_b64 v[14:15], v5, s[2:3] offset:24 scope:SCOPE_SYS
	global_load_b64 v[8:9], v5, s[2:3]
	s_wait_loadcnt 0x2
	v_readfirstlane_b32 s10, v6
	v_readfirstlane_b32 s11, v7
	s_add_nc_u64 s[0:1], s[10:11], 1
	s_delay_alu instid0(SALU_CYCLE_1) | instskip(NEXT) | instid1(SALU_CYCLE_1)
	s_add_nc_u64 s[6:7], s[0:1], s[6:7]
	s_cmp_eq_u64 s[6:7], 0
	s_cselect_b32 s1, s1, s7
	s_cselect_b32 s0, s0, s6
	v_mov_b32_e32 v13, s1
	s_and_b64 s[6:7], s[0:1], s[10:11]
	v_mov_b32_e32 v12, s0
	s_mul_u64 s[6:7], s[6:7], 24
	s_wait_loadcnt 0x0
	v_add_nc_u64_e32 v[10:11], s[6:7], v[8:9]
	global_store_b64 v[10:11], v[14:15], off
	global_wb scope:SCOPE_SYS
	s_wait_storecnt 0x0
	s_wait_xcnt 0x0
	global_atomic_cmpswap_b64 v[8:9], v5, v[12:15], s[2:3] offset:24 th:TH_ATOMIC_RETURN scope:SCOPE_SYS
	s_wait_loadcnt 0x0
	v_cmp_ne_u64_e32 vcc_lo, v[8:9], v[14:15]
	s_and_b32 exec_lo, exec_lo, vcc_lo
	s_cbranch_execz .LBB1_362
; %bb.360:
	s_mov_b32 s6, 0
.LBB1_361:                              ; =>This Inner Loop Header: Depth=1
	v_dual_mov_b32 v6, s0 :: v_dual_mov_b32 v7, s1
	s_sleep 1
	global_store_b64 v[10:11], v[8:9], off
	global_wb scope:SCOPE_SYS
	s_wait_storecnt 0x0
	s_wait_xcnt 0x0
	global_atomic_cmpswap_b64 v[6:7], v5, v[6:9], s[2:3] offset:24 th:TH_ATOMIC_RETURN scope:SCOPE_SYS
	s_wait_loadcnt 0x0
	v_cmp_eq_u64_e32 vcc_lo, v[6:7], v[8:9]
	v_mov_b64_e32 v[8:9], v[6:7]
	s_or_b32 s6, vcc_lo, s6
	s_delay_alu instid0(SALU_CYCLE_1)
	s_and_not1_b32 exec_lo, exec_lo, s6
	s_cbranch_execnz .LBB1_361
.LBB1_362:
	s_or_b32 exec_lo, exec_lo, s8
	v_readfirstlane_b32 s0, v3
	v_mov_b64_e32 v[10:11], 0
	s_delay_alu instid0(VALU_DEP_2)
	v_cmp_eq_u32_e64 s0, s0, v3
	s_and_saveexec_b32 s1, s0
	s_cbranch_execz .LBB1_368
; %bb.363:
	v_mov_b32_e32 v3, 0
	s_mov_b32 s6, exec_lo
	global_load_b64 v[8:9], v3, s[2:3] offset:24 scope:SCOPE_SYS
	s_wait_loadcnt 0x0
	global_inv scope:SCOPE_SYS
	s_clause 0x1
	global_load_b64 v[6:7], v3, s[2:3] offset:40
	global_load_b64 v[10:11], v3, s[2:3]
	s_wait_loadcnt 0x1
	v_and_b32_e32 v6, v6, v8
	v_and_b32_e32 v7, v7, v9
	s_delay_alu instid0(VALU_DEP_1) | instskip(SKIP_1) | instid1(VALU_DEP_1)
	v_mul_u64_e32 v[6:7], 24, v[6:7]
	s_wait_loadcnt 0x0
	v_add_nc_u64_e32 v[6:7], v[10:11], v[6:7]
	global_load_b64 v[6:7], v[6:7], off scope:SCOPE_SYS
	s_wait_xcnt 0x0
	s_wait_loadcnt 0x0
	global_atomic_cmpswap_b64 v[10:11], v3, v[6:9], s[2:3] offset:24 th:TH_ATOMIC_RETURN scope:SCOPE_SYS
	s_wait_loadcnt 0x0
	global_inv scope:SCOPE_SYS
	s_wait_xcnt 0x0
	v_cmpx_ne_u64_e64 v[10:11], v[8:9]
	s_cbranch_execz .LBB1_367
; %bb.364:
	s_mov_b32 s7, 0
.LBB1_365:                              ; =>This Inner Loop Header: Depth=1
	s_sleep 1
	s_clause 0x1
	global_load_b64 v[6:7], v3, s[2:3] offset:40
	global_load_b64 v[12:13], v3, s[2:3]
	v_mov_b64_e32 v[8:9], v[10:11]
	s_wait_loadcnt 0x1
	s_delay_alu instid0(VALU_DEP_1) | instskip(SKIP_1) | instid1(VALU_DEP_1)
	v_and_b32_e32 v5, v6, v8
	s_wait_loadcnt 0x0
	v_mad_nc_u64_u32 v[10:11], v5, 24, v[12:13]
	s_delay_alu instid0(VALU_DEP_3) | instskip(NEXT) | instid1(VALU_DEP_1)
	v_and_b32_e32 v5, v7, v9
	v_mad_u32 v11, v5, 24, v11
	global_load_b64 v[6:7], v[10:11], off scope:SCOPE_SYS
	s_wait_xcnt 0x0
	s_wait_loadcnt 0x0
	global_atomic_cmpswap_b64 v[10:11], v3, v[6:9], s[2:3] offset:24 th:TH_ATOMIC_RETURN scope:SCOPE_SYS
	s_wait_loadcnt 0x0
	global_inv scope:SCOPE_SYS
	v_cmp_eq_u64_e32 vcc_lo, v[10:11], v[8:9]
	s_or_b32 s7, vcc_lo, s7
	s_wait_xcnt 0x0
	s_and_not1_b32 exec_lo, exec_lo, s7
	s_cbranch_execnz .LBB1_365
; %bb.366:
	s_or_b32 exec_lo, exec_lo, s7
.LBB1_367:
	s_delay_alu instid0(SALU_CYCLE_1)
	s_or_b32 exec_lo, exec_lo, s6
.LBB1_368:
	s_delay_alu instid0(SALU_CYCLE_1)
	s_or_b32 exec_lo, exec_lo, s1
	v_readfirstlane_b32 s6, v10
	v_mov_b32_e32 v3, 0
	v_readfirstlane_b32 s7, v11
	s_mov_b32 s1, exec_lo
	s_clause 0x1
	global_load_b64 v[12:13], v3, s[2:3] offset:40
	global_load_b128 v[6:9], v3, s[2:3]
	s_wait_loadcnt 0x1
	v_and_b32_e32 v12, s6, v12
	v_and_b32_e32 v13, s7, v13
	s_delay_alu instid0(VALU_DEP_1) | instskip(SKIP_1) | instid1(VALU_DEP_1)
	v_mul_u64_e32 v[10:11], 24, v[12:13]
	s_wait_loadcnt 0x0
	v_add_nc_u64_e32 v[10:11], v[6:7], v[10:11]
	s_wait_xcnt 0x0
	s_and_saveexec_b32 s8, s0
	s_cbranch_execz .LBB1_370
; %bb.369:
	v_mov_b64_e32 v[16:17], 0x100000002
	v_dual_mov_b32 v14, s1 :: v_dual_mov_b32 v15, v3
	global_store_b128 v[10:11], v[14:17], off offset:8
.LBB1_370:
	s_wait_xcnt 0x0
	s_or_b32 exec_lo, exec_lo, s8
	v_lshlrev_b64_e32 v[12:13], 12, v[12:13]
	s_mov_b32 s8, 0
	v_and_or_b32 v0, 0xffffff1d, v0, 34
	s_mov_b32 s10, s8
	s_mov_b32 s11, s8
	;; [unrolled: 1-line block ×3, first 2 shown]
	s_delay_alu instid0(VALU_DEP_2) | instskip(SKIP_2) | instid1(VALU_DEP_3)
	v_add_nc_u64_e32 v[8:9], v[8:9], v[12:13]
	v_mov_b64_e32 v[14:15], s[10:11]
	v_mov_b64_e32 v[12:13], s[8:9]
	v_readfirstlane_b32 s12, v8
	s_delay_alu instid0(VALU_DEP_4)
	v_readfirstlane_b32 s13, v9
	s_wait_dscnt 0x0
	s_clause 0x3
	global_store_b128 v4, v[0:3], s[12:13]
	global_store_b128 v4, v[12:15], s[12:13] offset:16
	global_store_b128 v4, v[12:15], s[12:13] offset:32
	;; [unrolled: 1-line block ×3, first 2 shown]
	s_wait_xcnt 0x0
	s_and_saveexec_b32 s1, s0
	s_cbranch_execz .LBB1_378
; %bb.371:
	v_mov_b32_e32 v3, 0
	s_mov_b32 s8, exec_lo
	s_clause 0x1
	global_load_b64 v[8:9], v3, s[2:3] offset:32 scope:SCOPE_SYS
	global_load_b64 v[0:1], v3, s[2:3] offset:40
	s_wait_loadcnt 0x0
	v_and_b32_e32 v0, s6, v0
	v_and_b32_e32 v1, s7, v1
	s_delay_alu instid0(VALU_DEP_1) | instskip(NEXT) | instid1(VALU_DEP_1)
	v_mul_u64_e32 v[0:1], 24, v[0:1]
	v_add_nc_u64_e32 v[0:1], v[6:7], v[0:1]
	v_dual_mov_b32 v6, s6 :: v_dual_mov_b32 v7, s7
	global_store_b64 v[0:1], v[8:9], off
	global_wb scope:SCOPE_SYS
	s_wait_storecnt 0x0
	s_wait_xcnt 0x0
	global_atomic_cmpswap_b64 v[6:7], v3, v[6:9], s[2:3] offset:32 th:TH_ATOMIC_RETURN scope:SCOPE_SYS
	s_wait_loadcnt 0x0
	v_cmpx_ne_u64_e64 v[6:7], v[8:9]
	s_cbranch_execz .LBB1_374
; %bb.372:
	s_mov_b32 s9, 0
.LBB1_373:                              ; =>This Inner Loop Header: Depth=1
	v_dual_mov_b32 v4, s6 :: v_dual_mov_b32 v5, s7
	s_sleep 1
	global_store_b64 v[0:1], v[6:7], off
	global_wb scope:SCOPE_SYS
	s_wait_storecnt 0x0
	s_wait_xcnt 0x0
	global_atomic_cmpswap_b64 v[4:5], v3, v[4:7], s[2:3] offset:32 th:TH_ATOMIC_RETURN scope:SCOPE_SYS
	s_wait_loadcnt 0x0
	v_cmp_eq_u64_e32 vcc_lo, v[4:5], v[6:7]
	v_mov_b64_e32 v[6:7], v[4:5]
	s_or_b32 s9, vcc_lo, s9
	s_delay_alu instid0(SALU_CYCLE_1)
	s_and_not1_b32 exec_lo, exec_lo, s9
	s_cbranch_execnz .LBB1_373
.LBB1_374:
	s_or_b32 exec_lo, exec_lo, s8
	v_mov_b32_e32 v5, 0
	s_mov_b32 s9, exec_lo
	s_mov_b32 s8, exec_lo
	v_mbcnt_lo_u32_b32 v3, s9, 0
	global_load_b64 v[0:1], v5, s[2:3] offset:16
	s_wait_xcnt 0x0
	v_cmpx_eq_u32_e32 0, v3
	s_cbranch_execz .LBB1_376
; %bb.375:
	s_bcnt1_i32_b32 s9, s9
	s_delay_alu instid0(SALU_CYCLE_1)
	v_mov_b32_e32 v4, s9
	global_wb scope:SCOPE_SYS
	s_wait_loadcnt 0x0
	s_wait_storecnt 0x0
	global_atomic_add_u64 v[0:1], v[4:5], off offset:8 scope:SCOPE_SYS
.LBB1_376:
	s_wait_xcnt 0x0
	s_or_b32 exec_lo, exec_lo, s8
	s_wait_loadcnt 0x0
	global_load_b64 v[4:5], v[0:1], off offset:16
	s_wait_loadcnt 0x0
	v_cmp_eq_u64_e32 vcc_lo, 0, v[4:5]
	s_cbranch_vccnz .LBB1_378
; %bb.377:
	global_load_b32 v0, v[0:1], off offset:24
	s_wait_xcnt 0x0
	v_mov_b32_e32 v1, 0
	s_wait_loadcnt 0x0
	v_readfirstlane_b32 s8, v0
	global_wb scope:SCOPE_SYS
	s_wait_storecnt 0x0
	global_store_b64 v[4:5], v[0:1], off scope:SCOPE_SYS
	s_and_b32 m0, s8, 0xffffff
	s_sendmsg sendmsg(MSG_INTERRUPT)
.LBB1_378:
	s_wait_xcnt 0x0
	s_or_b32 exec_lo, exec_lo, s1
	s_branch .LBB1_382
.LBB1_379:                              ;   in Loop: Header=BB1_382 Depth=1
	s_wait_xcnt 0x0
	s_or_b32 exec_lo, exec_lo, s1
	s_delay_alu instid0(VALU_DEP_1)
	v_readfirstlane_b32 s1, v0
	s_cmp_eq_u32 s1, 0
	s_cbranch_scc1 .LBB1_381
; %bb.380:                              ;   in Loop: Header=BB1_382 Depth=1
	s_sleep 1
	s_cbranch_execnz .LBB1_382
	s_branch .LBB1_384
.LBB1_381:
	s_branch .LBB1_384
.LBB1_382:                              ; =>This Inner Loop Header: Depth=1
	v_mov_b32_e32 v0, 1
	s_and_saveexec_b32 s1, s0
	s_cbranch_execz .LBB1_379
; %bb.383:                              ;   in Loop: Header=BB1_382 Depth=1
	global_load_b32 v0, v[10:11], off offset:20 scope:SCOPE_SYS
	s_wait_loadcnt 0x0
	global_inv scope:SCOPE_SYS
	v_and_b32_e32 v0, 1, v0
	s_branch .LBB1_379
.LBB1_384:
	s_and_saveexec_b32 s8, s0
	s_cbranch_execz .LBB1_388
; %bb.385:
	v_mov_b32_e32 v3, 0
	s_clause 0x2
	global_load_b64 v[0:1], v3, s[2:3] offset:40
	global_load_b64 v[8:9], v3, s[2:3] offset:24 scope:SCOPE_SYS
	global_load_b64 v[4:5], v3, s[2:3]
	s_wait_loadcnt 0x2
	v_readfirstlane_b32 s10, v0
	v_readfirstlane_b32 s11, v1
	s_add_nc_u64 s[0:1], s[10:11], 1
	s_delay_alu instid0(SALU_CYCLE_1) | instskip(NEXT) | instid1(SALU_CYCLE_1)
	s_add_nc_u64 s[6:7], s[0:1], s[6:7]
	s_cmp_eq_u64 s[6:7], 0
	s_cselect_b32 s1, s1, s7
	s_cselect_b32 s0, s0, s6
	v_mov_b32_e32 v7, s1
	s_and_b64 s[6:7], s[0:1], s[10:11]
	v_mov_b32_e32 v6, s0
	s_mul_u64 s[6:7], s[6:7], 24
	s_wait_loadcnt 0x0
	v_add_nc_u64_e32 v[0:1], s[6:7], v[4:5]
	global_store_b64 v[0:1], v[8:9], off
	global_wb scope:SCOPE_SYS
	s_wait_storecnt 0x0
	s_wait_xcnt 0x0
	global_atomic_cmpswap_b64 v[6:7], v3, v[6:9], s[2:3] offset:24 th:TH_ATOMIC_RETURN scope:SCOPE_SYS
	s_wait_loadcnt 0x0
	v_cmp_ne_u64_e32 vcc_lo, v[6:7], v[8:9]
	s_and_b32 exec_lo, exec_lo, vcc_lo
	s_cbranch_execz .LBB1_388
; %bb.386:
	s_mov_b32 s6, 0
.LBB1_387:                              ; =>This Inner Loop Header: Depth=1
	v_dual_mov_b32 v4, s0 :: v_dual_mov_b32 v5, s1
	s_sleep 1
	global_store_b64 v[0:1], v[6:7], off
	global_wb scope:SCOPE_SYS
	s_wait_storecnt 0x0
	s_wait_xcnt 0x0
	global_atomic_cmpswap_b64 v[4:5], v3, v[4:7], s[2:3] offset:24 th:TH_ATOMIC_RETURN scope:SCOPE_SYS
	s_wait_loadcnt 0x0
	v_cmp_eq_u64_e32 vcc_lo, v[4:5], v[6:7]
	v_mov_b64_e32 v[6:7], v[4:5]
	s_or_b32 s6, vcc_lo, s6
	s_delay_alu instid0(SALU_CYCLE_1)
	s_and_not1_b32 exec_lo, exec_lo, s6
	s_cbranch_execnz .LBB1_387
.LBB1_388:
	s_or_b32 exec_lo, exec_lo, s8
	v_and_b32_e32 v0, -4, v36
	global_store_b32 v0, v2, s[4:5]
.LBB1_389:
	s_endpgm
.LBB1_390:
	s_cbranch_execz .LBB1_196
	s_branch .LBB1_197
	.section	.rodata,"a",@progbits
	.p2align	6, 0x0
	.amdhsa_kernel _ZL32kernel_cg_group_partition_staticILj4EEvPi19TiledGroupShflTests
		.amdhsa_group_segment_fixed_size 0
		.amdhsa_private_segment_fixed_size 12
		.amdhsa_kernarg_size 272
		.amdhsa_user_sgpr_count 2
		.amdhsa_user_sgpr_dispatch_ptr 0
		.amdhsa_user_sgpr_queue_ptr 0
		.amdhsa_user_sgpr_kernarg_segment_ptr 1
		.amdhsa_user_sgpr_dispatch_id 0
		.amdhsa_user_sgpr_kernarg_preload_length 0
		.amdhsa_user_sgpr_kernarg_preload_offset 0
		.amdhsa_user_sgpr_private_segment_size 0
		.amdhsa_wavefront_size32 1
		.amdhsa_uses_dynamic_stack 0
		.amdhsa_enable_private_segment 1
		.amdhsa_system_sgpr_workgroup_id_x 1
		.amdhsa_system_sgpr_workgroup_id_y 0
		.amdhsa_system_sgpr_workgroup_id_z 0
		.amdhsa_system_sgpr_workgroup_info 0
		.amdhsa_system_vgpr_workitem_id 2
		.amdhsa_next_free_vgpr 37
		.amdhsa_next_free_sgpr 26
		.amdhsa_named_barrier_count 0
		.amdhsa_reserve_vcc 1
		.amdhsa_float_round_mode_32 0
		.amdhsa_float_round_mode_16_64 0
		.amdhsa_float_denorm_mode_32 3
		.amdhsa_float_denorm_mode_16_64 3
		.amdhsa_fp16_overflow 0
		.amdhsa_memory_ordered 1
		.amdhsa_forward_progress 1
		.amdhsa_inst_pref_size 135
		.amdhsa_round_robin_scheduling 0
		.amdhsa_exception_fp_ieee_invalid_op 0
		.amdhsa_exception_fp_denorm_src 0
		.amdhsa_exception_fp_ieee_div_zero 0
		.amdhsa_exception_fp_ieee_overflow 0
		.amdhsa_exception_fp_ieee_underflow 0
		.amdhsa_exception_fp_ieee_inexact 0
		.amdhsa_exception_int_div_zero 0
	.end_amdhsa_kernel
	.section	.text._ZL32kernel_cg_group_partition_staticILj4EEvPi19TiledGroupShflTests,"axG",@progbits,_ZL32kernel_cg_group_partition_staticILj4EEvPi19TiledGroupShflTests,comdat
.Lfunc_end1:
	.size	_ZL32kernel_cg_group_partition_staticILj4EEvPi19TiledGroupShflTests, .Lfunc_end1-_ZL32kernel_cg_group_partition_staticILj4EEvPi19TiledGroupShflTests
                                        ; -- End function
	.set _ZL32kernel_cg_group_partition_staticILj4EEvPi19TiledGroupShflTests.num_vgpr, 37
	.set _ZL32kernel_cg_group_partition_staticILj4EEvPi19TiledGroupShflTests.num_agpr, 0
	.set _ZL32kernel_cg_group_partition_staticILj4EEvPi19TiledGroupShflTests.numbered_sgpr, 26
	.set _ZL32kernel_cg_group_partition_staticILj4EEvPi19TiledGroupShflTests.num_named_barrier, 0
	.set _ZL32kernel_cg_group_partition_staticILj4EEvPi19TiledGroupShflTests.private_seg_size, 12
	.set _ZL32kernel_cg_group_partition_staticILj4EEvPi19TiledGroupShflTests.uses_vcc, 1
	.set _ZL32kernel_cg_group_partition_staticILj4EEvPi19TiledGroupShflTests.uses_flat_scratch, 0
	.set _ZL32kernel_cg_group_partition_staticILj4EEvPi19TiledGroupShflTests.has_dyn_sized_stack, 0
	.set _ZL32kernel_cg_group_partition_staticILj4EEvPi19TiledGroupShflTests.has_recursion, 0
	.set _ZL32kernel_cg_group_partition_staticILj4EEvPi19TiledGroupShflTests.has_indirect_call, 0
	.section	.AMDGPU.csdata,"",@progbits
; Kernel info:
; codeLenInByte = 17268
; TotalNumSgprs: 28
; NumVgprs: 37
; ScratchSize: 12
; MemoryBound: 0
; FloatMode: 240
; IeeeMode: 1
; LDSByteSize: 0 bytes/workgroup (compile time only)
; SGPRBlocks: 0
; VGPRBlocks: 2
; NumSGPRsForWavesPerEU: 28
; NumVGPRsForWavesPerEU: 37
; NamedBarCnt: 0
; Occupancy: 16
; WaveLimiterHint : 1
; COMPUTE_PGM_RSRC2:SCRATCH_EN: 1
; COMPUTE_PGM_RSRC2:USER_SGPR: 2
; COMPUTE_PGM_RSRC2:TRAP_HANDLER: 0
; COMPUTE_PGM_RSRC2:TGID_X_EN: 1
; COMPUTE_PGM_RSRC2:TGID_Y_EN: 0
; COMPUTE_PGM_RSRC2:TGID_Z_EN: 0
; COMPUTE_PGM_RSRC2:TIDIG_COMP_CNT: 2
	.section	.text._ZL32kernel_cg_group_partition_staticILj8EEvPi19TiledGroupShflTests,"axG",@progbits,_ZL32kernel_cg_group_partition_staticILj8EEvPi19TiledGroupShflTests,comdat
	.globl	_ZL32kernel_cg_group_partition_staticILj8EEvPi19TiledGroupShflTests ; -- Begin function _ZL32kernel_cg_group_partition_staticILj8EEvPi19TiledGroupShflTests
	.p2align	8
	.type	_ZL32kernel_cg_group_partition_staticILj8EEvPi19TiledGroupShflTests,@function
_ZL32kernel_cg_group_partition_staticILj8EEvPi19TiledGroupShflTests: ; @_ZL32kernel_cg_group_partition_staticILj8EEvPi19TiledGroupShflTests
; %bb.0:
	s_load_b32 s2, s[0:1], 0x1c
	v_bfe_u32 v1, v0, 10, 10
	v_bfe_u32 v2, v0, 20, 10
	v_and_b32_e32 v0, 0x3ff, v0
	s_add_nc_u64 s[8:9], s[0:1], 16
	s_mov_b32 s18, exec_lo
	s_wait_kmcnt 0x0
	s_lshr_b32 s19, s2, 16
	s_and_b32 s20, s2, 0xffff
	v_mad_u32_u24 v1, v2, s19, v1
	s_delay_alu instid0(VALU_DEP_1) | instskip(NEXT) | instid1(VALU_DEP_1)
	v_mad_u32 v36, v1, s20, v0
	v_cmpx_eq_u32_e32 0, v36
	s_cbranch_execz .LBB2_186
; %bb.1:
	s_clause 0x1
	s_load_b32 s21, s[8:9], 0x10
	s_load_b64 s[4:5], s[8:9], 0x50
	v_mbcnt_lo_u32_b32 v29, -1, 0
	v_mov_b64_e32 v[2:3], 0
	s_delay_alu instid0(VALU_DEP_2) | instskip(NEXT) | instid1(VALU_DEP_1)
	v_readfirstlane_b32 s2, v29
	v_cmp_eq_u32_e64 s2, s2, v29
	s_and_saveexec_b32 s3, s2
	s_cbranch_execz .LBB2_7
; %bb.2:
	v_mov_b32_e32 v0, 0
	s_mov_b32 s6, exec_lo
	s_wait_kmcnt 0x0
	global_load_b64 v[4:5], v0, s[4:5] offset:24 scope:SCOPE_SYS
	s_wait_loadcnt 0x0
	global_inv scope:SCOPE_SYS
	s_clause 0x1
	global_load_b64 v[2:3], v0, s[4:5] offset:40
	global_load_b64 v[6:7], v0, s[4:5]
	s_wait_loadcnt 0x1
	v_and_b32_e32 v2, v2, v4
	v_and_b32_e32 v3, v3, v5
	s_delay_alu instid0(VALU_DEP_1) | instskip(SKIP_1) | instid1(VALU_DEP_1)
	v_mul_u64_e32 v[2:3], 24, v[2:3]
	s_wait_loadcnt 0x0
	v_add_nc_u64_e32 v[2:3], v[6:7], v[2:3]
	global_load_b64 v[2:3], v[2:3], off scope:SCOPE_SYS
	s_wait_xcnt 0x0
	s_wait_loadcnt 0x0
	global_atomic_cmpswap_b64 v[2:3], v0, v[2:5], s[4:5] offset:24 th:TH_ATOMIC_RETURN scope:SCOPE_SYS
	s_wait_loadcnt 0x0
	global_inv scope:SCOPE_SYS
	s_wait_xcnt 0x0
	v_cmpx_ne_u64_e64 v[2:3], v[4:5]
	s_cbranch_execz .LBB2_6
; %bb.3:
	s_mov_b32 s7, 0
.LBB2_4:                                ; =>This Inner Loop Header: Depth=1
	s_sleep 1
	s_clause 0x1
	global_load_b64 v[6:7], v0, s[4:5] offset:40
	global_load_b64 v[8:9], v0, s[4:5]
	v_mov_b64_e32 v[4:5], v[2:3]
	s_wait_loadcnt 0x1
	s_delay_alu instid0(VALU_DEP_1) | instskip(SKIP_1) | instid1(VALU_DEP_1)
	v_and_b32_e32 v1, v6, v4
	s_wait_loadcnt 0x0
	v_mad_nc_u64_u32 v[2:3], v1, 24, v[8:9]
	s_delay_alu instid0(VALU_DEP_3) | instskip(NEXT) | instid1(VALU_DEP_1)
	v_and_b32_e32 v1, v7, v5
	v_mad_u32 v3, v1, 24, v3
	global_load_b64 v[2:3], v[2:3], off scope:SCOPE_SYS
	s_wait_xcnt 0x0
	s_wait_loadcnt 0x0
	global_atomic_cmpswap_b64 v[2:3], v0, v[2:5], s[4:5] offset:24 th:TH_ATOMIC_RETURN scope:SCOPE_SYS
	s_wait_loadcnt 0x0
	global_inv scope:SCOPE_SYS
	v_cmp_eq_u64_e32 vcc_lo, v[2:3], v[4:5]
	s_or_b32 s7, vcc_lo, s7
	s_wait_xcnt 0x0
	s_and_not1_b32 exec_lo, exec_lo, s7
	s_cbranch_execnz .LBB2_4
; %bb.5:
	s_or_b32 exec_lo, exec_lo, s7
.LBB2_6:
	s_delay_alu instid0(SALU_CYCLE_1)
	s_or_b32 exec_lo, exec_lo, s6
.LBB2_7:
	s_delay_alu instid0(SALU_CYCLE_1)
	s_or_b32 exec_lo, exec_lo, s3
	v_readfirstlane_b32 s6, v2
	v_mov_b32_e32 v1, 0
	v_readfirstlane_b32 s7, v3
	s_mov_b32 s3, exec_lo
	s_wait_kmcnt 0x0
	s_clause 0x1
	global_load_b64 v[8:9], v1, s[4:5] offset:40
	global_load_b128 v[4:7], v1, s[4:5]
	s_wait_loadcnt 0x1
	v_and_b32_e32 v10, s6, v8
	v_and_b32_e32 v11, s7, v9
	s_delay_alu instid0(VALU_DEP_1) | instskip(SKIP_1) | instid1(VALU_DEP_1)
	v_mul_u64_e32 v[2:3], 24, v[10:11]
	s_wait_loadcnt 0x0
	v_add_nc_u64_e32 v[8:9], v[4:5], v[2:3]
	s_and_saveexec_b32 s10, s2
	s_cbranch_execz .LBB2_9
; %bb.8:
	v_mov_b64_e32 v[2:3], 0x100000002
	v_mov_b32_e32 v0, s3
	global_store_b128 v[8:9], v[0:3], off offset:8
.LBB2_9:
	s_wait_xcnt 0x0
	s_or_b32 exec_lo, exec_lo, s10
	v_lshlrev_b64_e32 v[2:3], 12, v[10:11]
	s_mov_b32 s12, 0
	v_dual_lshlrev_b32 v0, 6, v29 :: v_dual_mov_b32 v10, 33
	s_mov_b32 s14, s12
	s_mov_b32 s15, s12
	;; [unrolled: 1-line block ×3, first 2 shown]
	s_delay_alu instid0(VALU_DEP_2)
	v_add_nc_u64_e32 v[6:7], v[6:7], v[2:3]
	v_mov_b64_e32 v[16:17], s[14:15]
	v_mov_b64_e32 v[14:15], s[12:13]
	v_dual_mov_b32 v11, v1 :: v_dual_mov_b32 v12, v1
	v_mov_b32_e32 v13, v1
	v_readfirstlane_b32 s10, v6
	v_readfirstlane_b32 s11, v7
	s_clause 0x3
	global_store_b128 v0, v[10:13], s[10:11]
	global_store_b128 v0, v[14:17], s[10:11] offset:16
	global_store_b128 v0, v[14:17], s[10:11] offset:32
	;; [unrolled: 1-line block ×3, first 2 shown]
	s_wait_xcnt 0x0
	s_and_saveexec_b32 s3, s2
	s_cbranch_execz .LBB2_17
; %bb.10:
	v_dual_mov_b32 v12, 0 :: v_dual_mov_b32 v15, s7
	s_mov_b32 s10, exec_lo
	s_clause 0x1
	global_load_b64 v[16:17], v12, s[4:5] offset:32 scope:SCOPE_SYS
	global_load_b64 v[2:3], v12, s[4:5] offset:40
	s_wait_loadcnt 0x0
	v_dual_mov_b32 v14, s6 :: v_dual_bitop2_b32 v3, s7, v3 bitop3:0x40
	v_and_b32_e32 v2, s6, v2
	s_delay_alu instid0(VALU_DEP_1) | instskip(NEXT) | instid1(VALU_DEP_1)
	v_mul_u64_e32 v[2:3], 24, v[2:3]
	v_add_nc_u64_e32 v[10:11], v[4:5], v[2:3]
	global_store_b64 v[10:11], v[16:17], off
	global_wb scope:SCOPE_SYS
	s_wait_storecnt 0x0
	s_wait_xcnt 0x0
	global_atomic_cmpswap_b64 v[4:5], v12, v[14:17], s[4:5] offset:32 th:TH_ATOMIC_RETURN scope:SCOPE_SYS
	s_wait_loadcnt 0x0
	v_cmpx_ne_u64_e64 v[4:5], v[16:17]
	s_cbranch_execz .LBB2_13
; %bb.11:
	s_mov_b32 s11, 0
.LBB2_12:                               ; =>This Inner Loop Header: Depth=1
	v_dual_mov_b32 v2, s6 :: v_dual_mov_b32 v3, s7
	s_sleep 1
	global_store_b64 v[10:11], v[4:5], off
	global_wb scope:SCOPE_SYS
	s_wait_storecnt 0x0
	s_wait_xcnt 0x0
	global_atomic_cmpswap_b64 v[2:3], v12, v[2:5], s[4:5] offset:32 th:TH_ATOMIC_RETURN scope:SCOPE_SYS
	s_wait_loadcnt 0x0
	v_cmp_eq_u64_e32 vcc_lo, v[2:3], v[4:5]
	v_mov_b64_e32 v[4:5], v[2:3]
	s_or_b32 s11, vcc_lo, s11
	s_delay_alu instid0(SALU_CYCLE_1)
	s_and_not1_b32 exec_lo, exec_lo, s11
	s_cbranch_execnz .LBB2_12
.LBB2_13:
	s_or_b32 exec_lo, exec_lo, s10
	v_mov_b32_e32 v5, 0
	s_mov_b32 s11, exec_lo
	s_mov_b32 s10, exec_lo
	v_mbcnt_lo_u32_b32 v4, s11, 0
	global_load_b64 v[2:3], v5, s[4:5] offset:16
	s_wait_xcnt 0x0
	v_cmpx_eq_u32_e32 0, v4
	s_cbranch_execz .LBB2_15
; %bb.14:
	s_bcnt1_i32_b32 s11, s11
	s_delay_alu instid0(SALU_CYCLE_1)
	v_mov_b32_e32 v4, s11
	global_wb scope:SCOPE_SYS
	s_wait_loadcnt 0x0
	s_wait_storecnt 0x0
	global_atomic_add_u64 v[2:3], v[4:5], off offset:8 scope:SCOPE_SYS
.LBB2_15:
	s_wait_xcnt 0x0
	s_or_b32 exec_lo, exec_lo, s10
	s_wait_loadcnt 0x0
	global_load_b64 v[4:5], v[2:3], off offset:16
	s_wait_loadcnt 0x0
	v_cmp_eq_u64_e32 vcc_lo, 0, v[4:5]
	s_cbranch_vccnz .LBB2_17
; %bb.16:
	global_load_b32 v2, v[2:3], off offset:24
	s_wait_xcnt 0x0
	v_mov_b32_e32 v3, 0
	s_wait_loadcnt 0x0
	v_readfirstlane_b32 s10, v2
	global_wb scope:SCOPE_SYS
	s_wait_storecnt 0x0
	global_store_b64 v[4:5], v[2:3], off scope:SCOPE_SYS
	s_and_b32 m0, s10, 0xffffff
	s_sendmsg sendmsg(MSG_INTERRUPT)
.LBB2_17:
	s_wait_xcnt 0x0
	s_or_b32 exec_lo, exec_lo, s3
	v_add_nc_u64_e32 v[2:3], v[6:7], v[0:1]
	s_branch .LBB2_21
.LBB2_18:                               ;   in Loop: Header=BB2_21 Depth=1
	s_wait_xcnt 0x0
	s_or_b32 exec_lo, exec_lo, s3
	s_delay_alu instid0(VALU_DEP_1)
	v_readfirstlane_b32 s3, v1
	s_cmp_eq_u32 s3, 0
	s_cbranch_scc1 .LBB2_20
; %bb.19:                               ;   in Loop: Header=BB2_21 Depth=1
	s_sleep 1
	s_cbranch_execnz .LBB2_21
	s_branch .LBB2_23
.LBB2_20:
	s_branch .LBB2_23
.LBB2_21:                               ; =>This Inner Loop Header: Depth=1
	v_mov_b32_e32 v1, 1
	s_and_saveexec_b32 s3, s2
	s_cbranch_execz .LBB2_18
; %bb.22:                               ;   in Loop: Header=BB2_21 Depth=1
	global_load_b32 v1, v[8:9], off offset:20 scope:SCOPE_SYS
	s_wait_loadcnt 0x0
	global_inv scope:SCOPE_SYS
	v_and_b32_e32 v1, 1, v1
	s_branch .LBB2_18
.LBB2_23:
	global_load_b64 v[2:3], v[2:3], off
	s_wait_xcnt 0x0
	s_and_saveexec_b32 s10, s2
	s_cbranch_execz .LBB2_27
; %bb.24:
	v_mov_b32_e32 v1, 0
	s_clause 0x2
	global_load_b64 v[4:5], v1, s[4:5] offset:40
	global_load_b64 v[12:13], v1, s[4:5] offset:24 scope:SCOPE_SYS
	global_load_b64 v[6:7], v1, s[4:5]
	s_wait_loadcnt 0x2
	v_readfirstlane_b32 s12, v4
	v_readfirstlane_b32 s13, v5
	s_add_nc_u64 s[2:3], s[12:13], 1
	s_delay_alu instid0(SALU_CYCLE_1) | instskip(NEXT) | instid1(SALU_CYCLE_1)
	s_add_nc_u64 s[6:7], s[2:3], s[6:7]
	s_cmp_eq_u64 s[6:7], 0
	s_cselect_b32 s3, s3, s7
	s_cselect_b32 s2, s2, s6
	v_mov_b32_e32 v11, s3
	s_and_b64 s[6:7], s[2:3], s[12:13]
	v_mov_b32_e32 v10, s2
	s_mul_u64 s[6:7], s[6:7], 24
	s_wait_loadcnt 0x0
	v_add_nc_u64_e32 v[8:9], s[6:7], v[6:7]
	global_store_b64 v[8:9], v[12:13], off
	global_wb scope:SCOPE_SYS
	s_wait_storecnt 0x0
	s_wait_xcnt 0x0
	global_atomic_cmpswap_b64 v[6:7], v1, v[10:13], s[4:5] offset:24 th:TH_ATOMIC_RETURN scope:SCOPE_SYS
	s_wait_loadcnt 0x0
	v_cmp_ne_u64_e32 vcc_lo, v[6:7], v[12:13]
	s_and_b32 exec_lo, exec_lo, vcc_lo
	s_cbranch_execz .LBB2_27
; %bb.25:
	s_mov_b32 s6, 0
.LBB2_26:                               ; =>This Inner Loop Header: Depth=1
	v_dual_mov_b32 v4, s2 :: v_dual_mov_b32 v5, s3
	s_sleep 1
	global_store_b64 v[8:9], v[6:7], off
	global_wb scope:SCOPE_SYS
	s_wait_storecnt 0x0
	s_wait_xcnt 0x0
	global_atomic_cmpswap_b64 v[4:5], v1, v[4:7], s[4:5] offset:24 th:TH_ATOMIC_RETURN scope:SCOPE_SYS
	s_wait_loadcnt 0x0
	v_cmp_eq_u64_e32 vcc_lo, v[4:5], v[6:7]
	v_mov_b64_e32 v[6:7], v[4:5]
	s_or_b32 s6, vcc_lo, s6
	s_delay_alu instid0(SALU_CYCLE_1)
	s_and_not1_b32 exec_lo, exec_lo, s6
	s_cbranch_execnz .LBB2_26
.LBB2_27:
	s_or_b32 exec_lo, exec_lo, s10
	s_get_pc_i64 s[6:7]
	s_add_nc_u64 s[6:7], s[6:7], .str@rel64+4
	s_delay_alu instid0(SALU_CYCLE_1)
	s_cmp_lg_u64 s[6:7], 0
	s_cbranch_scc0 .LBB2_106
; %bb.28:
	v_mov_b64_e32 v[10:11], 0x100000002
	s_wait_loadcnt 0x0
	v_dual_mov_b32 v9, 0 :: v_dual_bitop2_b32 v28, 2, v2 bitop3:0x40
	v_dual_mov_b32 v5, v3 :: v_dual_bitop2_b32 v4, -3, v2 bitop3:0x40
	s_mov_b64 s[10:11], 48
	s_branch .LBB2_30
.LBB2_29:                               ;   in Loop: Header=BB2_30 Depth=1
	s_or_b32 exec_lo, exec_lo, s16
	s_sub_nc_u64 s[10:11], s[10:11], s[12:13]
	s_add_nc_u64 s[6:7], s[6:7], s[12:13]
	s_cmp_lg_u64 s[10:11], 0
	s_cbranch_scc0 .LBB2_105
.LBB2_30:                               ; =>This Loop Header: Depth=1
                                        ;     Child Loop BB2_33 Depth 2
                                        ;     Child Loop BB2_40 Depth 2
	;; [unrolled: 1-line block ×11, first 2 shown]
	v_min_u64 v[6:7], s[10:11], 56
	v_cmp_gt_u64_e64 s2, s[10:11], 7
	s_and_b32 vcc_lo, exec_lo, s2
	v_readfirstlane_b32 s12, v6
	v_readfirstlane_b32 s13, v7
	s_cbranch_vccnz .LBB2_35
; %bb.31:                               ;   in Loop: Header=BB2_30 Depth=1
	v_mov_b64_e32 v[6:7], 0
	s_cmp_eq_u64 s[10:11], 0
	s_cbranch_scc1 .LBB2_34
; %bb.32:                               ;   in Loop: Header=BB2_30 Depth=1
	s_mov_b64 s[2:3], 0
	s_mov_b64 s[14:15], 0
.LBB2_33:                               ;   Parent Loop BB2_30 Depth=1
                                        ; =>  This Inner Loop Header: Depth=2
	s_wait_xcnt 0x0
	s_add_nc_u64 s[16:17], s[6:7], s[14:15]
	s_add_nc_u64 s[14:15], s[14:15], 1
	global_load_u8 v1, v9, s[16:17]
	s_cmp_lg_u32 s12, s14
	s_wait_loadcnt 0x0
	v_and_b32_e32 v8, 0xffff, v1
	s_delay_alu instid0(VALU_DEP_1) | instskip(SKIP_1) | instid1(VALU_DEP_1)
	v_lshlrev_b64_e32 v[12:13], s2, v[8:9]
	s_add_nc_u64 s[2:3], s[2:3], 8
	v_or_b32_e32 v6, v12, v6
	s_delay_alu instid0(VALU_DEP_2)
	v_or_b32_e32 v7, v13, v7
	s_cbranch_scc1 .LBB2_33
.LBB2_34:                               ;   in Loop: Header=BB2_30 Depth=1
	s_mov_b64 s[14:15], s[6:7]
	s_mov_b32 s22, 0
	s_cbranch_execz .LBB2_36
	s_branch .LBB2_37
.LBB2_35:                               ;   in Loop: Header=BB2_30 Depth=1
	s_add_nc_u64 s[14:15], s[6:7], 8
	s_mov_b32 s22, 0
.LBB2_36:                               ;   in Loop: Header=BB2_30 Depth=1
	global_load_b64 v[6:7], v9, s[6:7]
	s_add_co_i32 s22, s12, -8
.LBB2_37:                               ;   in Loop: Header=BB2_30 Depth=1
	s_delay_alu instid0(SALU_CYCLE_1)
	s_cmp_gt_u32 s22, 7
	s_cbranch_scc1 .LBB2_42
; %bb.38:                               ;   in Loop: Header=BB2_30 Depth=1
	v_mov_b64_e32 v[12:13], 0
	s_cmp_eq_u32 s22, 0
	s_cbranch_scc1 .LBB2_41
; %bb.39:                               ;   in Loop: Header=BB2_30 Depth=1
	s_mov_b64 s[2:3], 0
	s_wait_xcnt 0x0
	s_mov_b64 s[16:17], 0
.LBB2_40:                               ;   Parent Loop BB2_30 Depth=1
                                        ; =>  This Inner Loop Header: Depth=2
	s_wait_xcnt 0x0
	s_add_nc_u64 s[24:25], s[14:15], s[16:17]
	s_add_nc_u64 s[16:17], s[16:17], 1
	global_load_u8 v1, v9, s[24:25]
	s_cmp_lg_u32 s22, s16
	s_wait_loadcnt 0x0
	v_and_b32_e32 v8, 0xffff, v1
	s_delay_alu instid0(VALU_DEP_1) | instskip(SKIP_1) | instid1(VALU_DEP_1)
	v_lshlrev_b64_e32 v[14:15], s2, v[8:9]
	s_add_nc_u64 s[2:3], s[2:3], 8
	v_or_b32_e32 v12, v14, v12
	s_delay_alu instid0(VALU_DEP_2)
	v_or_b32_e32 v13, v15, v13
	s_cbranch_scc1 .LBB2_40
.LBB2_41:                               ;   in Loop: Header=BB2_30 Depth=1
	s_wait_xcnt 0x0
	s_mov_b64 s[2:3], s[14:15]
	s_mov_b32 s23, 0
	s_cbranch_execz .LBB2_43
	s_branch .LBB2_44
.LBB2_42:                               ;   in Loop: Header=BB2_30 Depth=1
	s_add_nc_u64 s[2:3], s[14:15], 8
	s_wait_xcnt 0x0
                                        ; implicit-def: $vgpr12_vgpr13
	s_mov_b32 s23, 0
.LBB2_43:                               ;   in Loop: Header=BB2_30 Depth=1
	global_load_b64 v[12:13], v9, s[14:15]
	s_add_co_i32 s23, s22, -8
.LBB2_44:                               ;   in Loop: Header=BB2_30 Depth=1
	s_delay_alu instid0(SALU_CYCLE_1)
	s_cmp_gt_u32 s23, 7
	s_cbranch_scc1 .LBB2_49
; %bb.45:                               ;   in Loop: Header=BB2_30 Depth=1
	v_mov_b64_e32 v[14:15], 0
	s_cmp_eq_u32 s23, 0
	s_cbranch_scc1 .LBB2_48
; %bb.46:                               ;   in Loop: Header=BB2_30 Depth=1
	s_wait_xcnt 0x0
	s_mov_b64 s[14:15], 0
	s_mov_b64 s[16:17], 0
.LBB2_47:                               ;   Parent Loop BB2_30 Depth=1
                                        ; =>  This Inner Loop Header: Depth=2
	s_wait_xcnt 0x0
	s_add_nc_u64 s[24:25], s[2:3], s[16:17]
	s_add_nc_u64 s[16:17], s[16:17], 1
	global_load_u8 v1, v9, s[24:25]
	s_cmp_lg_u32 s23, s16
	s_wait_loadcnt 0x0
	v_and_b32_e32 v8, 0xffff, v1
	s_delay_alu instid0(VALU_DEP_1) | instskip(SKIP_1) | instid1(VALU_DEP_1)
	v_lshlrev_b64_e32 v[16:17], s14, v[8:9]
	s_add_nc_u64 s[14:15], s[14:15], 8
	v_or_b32_e32 v14, v16, v14
	s_delay_alu instid0(VALU_DEP_2)
	v_or_b32_e32 v15, v17, v15
	s_cbranch_scc1 .LBB2_47
.LBB2_48:                               ;   in Loop: Header=BB2_30 Depth=1
	s_wait_xcnt 0x0
	s_mov_b64 s[14:15], s[2:3]
	s_mov_b32 s22, 0
	s_cbranch_execz .LBB2_50
	s_branch .LBB2_51
.LBB2_49:                               ;   in Loop: Header=BB2_30 Depth=1
	s_wait_xcnt 0x0
	s_add_nc_u64 s[14:15], s[2:3], 8
	s_mov_b32 s22, 0
.LBB2_50:                               ;   in Loop: Header=BB2_30 Depth=1
	global_load_b64 v[14:15], v9, s[2:3]
	s_add_co_i32 s22, s23, -8
.LBB2_51:                               ;   in Loop: Header=BB2_30 Depth=1
	s_delay_alu instid0(SALU_CYCLE_1)
	s_cmp_gt_u32 s22, 7
	s_cbranch_scc1 .LBB2_56
; %bb.52:                               ;   in Loop: Header=BB2_30 Depth=1
	v_mov_b64_e32 v[16:17], 0
	s_cmp_eq_u32 s22, 0
	s_cbranch_scc1 .LBB2_55
; %bb.53:                               ;   in Loop: Header=BB2_30 Depth=1
	s_wait_xcnt 0x0
	s_mov_b64 s[2:3], 0
	s_mov_b64 s[16:17], 0
.LBB2_54:                               ;   Parent Loop BB2_30 Depth=1
                                        ; =>  This Inner Loop Header: Depth=2
	s_wait_xcnt 0x0
	s_add_nc_u64 s[24:25], s[14:15], s[16:17]
	s_add_nc_u64 s[16:17], s[16:17], 1
	global_load_u8 v1, v9, s[24:25]
	s_cmp_lg_u32 s22, s16
	s_wait_loadcnt 0x0
	v_and_b32_e32 v8, 0xffff, v1
	s_delay_alu instid0(VALU_DEP_1) | instskip(SKIP_1) | instid1(VALU_DEP_1)
	v_lshlrev_b64_e32 v[18:19], s2, v[8:9]
	s_add_nc_u64 s[2:3], s[2:3], 8
	v_or_b32_e32 v16, v18, v16
	s_delay_alu instid0(VALU_DEP_2)
	v_or_b32_e32 v17, v19, v17
	s_cbranch_scc1 .LBB2_54
.LBB2_55:                               ;   in Loop: Header=BB2_30 Depth=1
	s_wait_xcnt 0x0
	s_mov_b64 s[2:3], s[14:15]
	s_mov_b32 s23, 0
	s_cbranch_execz .LBB2_57
	s_branch .LBB2_58
.LBB2_56:                               ;   in Loop: Header=BB2_30 Depth=1
	s_wait_xcnt 0x0
	s_add_nc_u64 s[2:3], s[14:15], 8
                                        ; implicit-def: $vgpr16_vgpr17
	s_mov_b32 s23, 0
.LBB2_57:                               ;   in Loop: Header=BB2_30 Depth=1
	global_load_b64 v[16:17], v9, s[14:15]
	s_add_co_i32 s23, s22, -8
.LBB2_58:                               ;   in Loop: Header=BB2_30 Depth=1
	s_delay_alu instid0(SALU_CYCLE_1)
	s_cmp_gt_u32 s23, 7
	s_cbranch_scc1 .LBB2_63
; %bb.59:                               ;   in Loop: Header=BB2_30 Depth=1
	v_mov_b64_e32 v[18:19], 0
	s_cmp_eq_u32 s23, 0
	s_cbranch_scc1 .LBB2_62
; %bb.60:                               ;   in Loop: Header=BB2_30 Depth=1
	s_wait_xcnt 0x0
	s_mov_b64 s[14:15], 0
	s_mov_b64 s[16:17], 0
.LBB2_61:                               ;   Parent Loop BB2_30 Depth=1
                                        ; =>  This Inner Loop Header: Depth=2
	s_wait_xcnt 0x0
	s_add_nc_u64 s[24:25], s[2:3], s[16:17]
	s_add_nc_u64 s[16:17], s[16:17], 1
	global_load_u8 v1, v9, s[24:25]
	s_cmp_lg_u32 s23, s16
	s_wait_loadcnt 0x0
	v_and_b32_e32 v8, 0xffff, v1
	s_delay_alu instid0(VALU_DEP_1) | instskip(SKIP_1) | instid1(VALU_DEP_1)
	v_lshlrev_b64_e32 v[20:21], s14, v[8:9]
	s_add_nc_u64 s[14:15], s[14:15], 8
	v_or_b32_e32 v18, v20, v18
	s_delay_alu instid0(VALU_DEP_2)
	v_or_b32_e32 v19, v21, v19
	s_cbranch_scc1 .LBB2_61
.LBB2_62:                               ;   in Loop: Header=BB2_30 Depth=1
	s_wait_xcnt 0x0
	s_mov_b64 s[14:15], s[2:3]
	s_mov_b32 s22, 0
	s_cbranch_execz .LBB2_64
	s_branch .LBB2_65
.LBB2_63:                               ;   in Loop: Header=BB2_30 Depth=1
	s_wait_xcnt 0x0
	s_add_nc_u64 s[14:15], s[2:3], 8
	s_mov_b32 s22, 0
.LBB2_64:                               ;   in Loop: Header=BB2_30 Depth=1
	global_load_b64 v[18:19], v9, s[2:3]
	s_add_co_i32 s22, s23, -8
.LBB2_65:                               ;   in Loop: Header=BB2_30 Depth=1
	s_delay_alu instid0(SALU_CYCLE_1)
	s_cmp_gt_u32 s22, 7
	s_cbranch_scc1 .LBB2_70
; %bb.66:                               ;   in Loop: Header=BB2_30 Depth=1
	v_mov_b64_e32 v[20:21], 0
	s_cmp_eq_u32 s22, 0
	s_cbranch_scc1 .LBB2_69
; %bb.67:                               ;   in Loop: Header=BB2_30 Depth=1
	s_wait_xcnt 0x0
	s_mov_b64 s[2:3], 0
	s_mov_b64 s[16:17], 0
.LBB2_68:                               ;   Parent Loop BB2_30 Depth=1
                                        ; =>  This Inner Loop Header: Depth=2
	s_wait_xcnt 0x0
	s_add_nc_u64 s[24:25], s[14:15], s[16:17]
	s_add_nc_u64 s[16:17], s[16:17], 1
	global_load_u8 v1, v9, s[24:25]
	s_cmp_lg_u32 s22, s16
	s_wait_loadcnt 0x0
	v_and_b32_e32 v8, 0xffff, v1
	s_delay_alu instid0(VALU_DEP_1) | instskip(SKIP_1) | instid1(VALU_DEP_1)
	v_lshlrev_b64_e32 v[22:23], s2, v[8:9]
	s_add_nc_u64 s[2:3], s[2:3], 8
	v_or_b32_e32 v20, v22, v20
	s_delay_alu instid0(VALU_DEP_2)
	v_or_b32_e32 v21, v23, v21
	s_cbranch_scc1 .LBB2_68
.LBB2_69:                               ;   in Loop: Header=BB2_30 Depth=1
	s_wait_xcnt 0x0
	s_mov_b64 s[2:3], s[14:15]
	s_mov_b32 s23, 0
	s_cbranch_execz .LBB2_71
	s_branch .LBB2_72
.LBB2_70:                               ;   in Loop: Header=BB2_30 Depth=1
	s_wait_xcnt 0x0
	s_add_nc_u64 s[2:3], s[14:15], 8
                                        ; implicit-def: $vgpr20_vgpr21
	s_mov_b32 s23, 0
.LBB2_71:                               ;   in Loop: Header=BB2_30 Depth=1
	global_load_b64 v[20:21], v9, s[14:15]
	s_add_co_i32 s23, s22, -8
.LBB2_72:                               ;   in Loop: Header=BB2_30 Depth=1
	s_delay_alu instid0(SALU_CYCLE_1)
	s_cmp_gt_u32 s23, 7
	s_cbranch_scc1 .LBB2_77
; %bb.73:                               ;   in Loop: Header=BB2_30 Depth=1
	v_mov_b64_e32 v[22:23], 0
	s_cmp_eq_u32 s23, 0
	s_cbranch_scc1 .LBB2_76
; %bb.74:                               ;   in Loop: Header=BB2_30 Depth=1
	s_wait_xcnt 0x0
	s_mov_b64 s[14:15], 0
	s_mov_b64 s[16:17], s[2:3]
.LBB2_75:                               ;   Parent Loop BB2_30 Depth=1
                                        ; =>  This Inner Loop Header: Depth=2
	global_load_u8 v1, v9, s[16:17]
	s_add_co_i32 s23, s23, -1
	s_wait_xcnt 0x0
	s_add_nc_u64 s[16:17], s[16:17], 1
	s_cmp_lg_u32 s23, 0
	s_wait_loadcnt 0x0
	v_and_b32_e32 v8, 0xffff, v1
	s_delay_alu instid0(VALU_DEP_1) | instskip(SKIP_1) | instid1(VALU_DEP_1)
	v_lshlrev_b64_e32 v[24:25], s14, v[8:9]
	s_add_nc_u64 s[14:15], s[14:15], 8
	v_or_b32_e32 v22, v24, v22
	s_delay_alu instid0(VALU_DEP_2)
	v_or_b32_e32 v23, v25, v23
	s_cbranch_scc1 .LBB2_75
.LBB2_76:                               ;   in Loop: Header=BB2_30 Depth=1
	s_wait_xcnt 0x0
	s_cbranch_execz .LBB2_78
	s_branch .LBB2_79
.LBB2_77:                               ;   in Loop: Header=BB2_30 Depth=1
	s_wait_xcnt 0x0
.LBB2_78:                               ;   in Loop: Header=BB2_30 Depth=1
	global_load_b64 v[22:23], v9, s[2:3]
.LBB2_79:                               ;   in Loop: Header=BB2_30 Depth=1
	s_wait_xcnt 0x0
	v_readfirstlane_b32 s2, v29
	v_mov_b64_e32 v[30:31], 0
	s_delay_alu instid0(VALU_DEP_2)
	v_cmp_eq_u32_e64 s2, s2, v29
	s_and_saveexec_b32 s3, s2
	s_cbranch_execz .LBB2_85
; %bb.80:                               ;   in Loop: Header=BB2_30 Depth=1
	global_load_b64 v[26:27], v9, s[4:5] offset:24 scope:SCOPE_SYS
	s_wait_loadcnt 0x0
	global_inv scope:SCOPE_SYS
	s_clause 0x1
	global_load_b64 v[24:25], v9, s[4:5] offset:40
	global_load_b64 v[30:31], v9, s[4:5]
	s_mov_b32 s14, exec_lo
	s_wait_loadcnt 0x1
	v_and_b32_e32 v24, v24, v26
	v_and_b32_e32 v25, v25, v27
	s_delay_alu instid0(VALU_DEP_1) | instskip(SKIP_1) | instid1(VALU_DEP_1)
	v_mul_u64_e32 v[24:25], 24, v[24:25]
	s_wait_loadcnt 0x0
	v_add_nc_u64_e32 v[24:25], v[30:31], v[24:25]
	global_load_b64 v[24:25], v[24:25], off scope:SCOPE_SYS
	s_wait_xcnt 0x0
	s_wait_loadcnt 0x0
	global_atomic_cmpswap_b64 v[30:31], v9, v[24:27], s[4:5] offset:24 th:TH_ATOMIC_RETURN scope:SCOPE_SYS
	s_wait_loadcnt 0x0
	global_inv scope:SCOPE_SYS
	s_wait_xcnt 0x0
	v_cmpx_ne_u64_e64 v[30:31], v[26:27]
	s_cbranch_execz .LBB2_84
; %bb.81:                               ;   in Loop: Header=BB2_30 Depth=1
	s_mov_b32 s15, 0
.LBB2_82:                               ;   Parent Loop BB2_30 Depth=1
                                        ; =>  This Inner Loop Header: Depth=2
	s_sleep 1
	s_clause 0x1
	global_load_b64 v[24:25], v9, s[4:5] offset:40
	global_load_b64 v[32:33], v9, s[4:5]
	v_mov_b64_e32 v[26:27], v[30:31]
	s_wait_loadcnt 0x1
	s_delay_alu instid0(VALU_DEP_1) | instskip(SKIP_1) | instid1(VALU_DEP_1)
	v_and_b32_e32 v1, v24, v26
	s_wait_loadcnt 0x0
	v_mad_nc_u64_u32 v[30:31], v1, 24, v[32:33]
	s_delay_alu instid0(VALU_DEP_3) | instskip(NEXT) | instid1(VALU_DEP_1)
	v_and_b32_e32 v1, v25, v27
	v_mad_u32 v31, v1, 24, v31
	global_load_b64 v[24:25], v[30:31], off scope:SCOPE_SYS
	s_wait_xcnt 0x0
	s_wait_loadcnt 0x0
	global_atomic_cmpswap_b64 v[30:31], v9, v[24:27], s[4:5] offset:24 th:TH_ATOMIC_RETURN scope:SCOPE_SYS
	s_wait_loadcnt 0x0
	global_inv scope:SCOPE_SYS
	v_cmp_eq_u64_e32 vcc_lo, v[30:31], v[26:27]
	s_or_b32 s15, vcc_lo, s15
	s_wait_xcnt 0x0
	s_and_not1_b32 exec_lo, exec_lo, s15
	s_cbranch_execnz .LBB2_82
; %bb.83:                               ;   in Loop: Header=BB2_30 Depth=1
	s_or_b32 exec_lo, exec_lo, s15
.LBB2_84:                               ;   in Loop: Header=BB2_30 Depth=1
	s_delay_alu instid0(SALU_CYCLE_1)
	s_or_b32 exec_lo, exec_lo, s14
.LBB2_85:                               ;   in Loop: Header=BB2_30 Depth=1
	s_delay_alu instid0(SALU_CYCLE_1)
	s_or_b32 exec_lo, exec_lo, s3
	s_clause 0x1
	global_load_b64 v[32:33], v9, s[4:5] offset:40
	global_load_b128 v[24:27], v9, s[4:5]
	v_readfirstlane_b32 s14, v30
	v_readfirstlane_b32 s15, v31
	s_mov_b32 s3, exec_lo
	s_wait_loadcnt 0x1
	v_and_b32_e32 v32, s14, v32
	v_and_b32_e32 v33, s15, v33
	s_delay_alu instid0(VALU_DEP_1) | instskip(SKIP_1) | instid1(VALU_DEP_1)
	v_mul_u64_e32 v[30:31], 24, v[32:33]
	s_wait_loadcnt 0x0
	v_add_nc_u64_e32 v[30:31], v[24:25], v[30:31]
	s_wait_xcnt 0x0
	s_and_saveexec_b32 s16, s2
	s_cbranch_execz .LBB2_87
; %bb.86:                               ;   in Loop: Header=BB2_30 Depth=1
	v_mov_b32_e32 v8, s3
	global_store_b128 v[30:31], v[8:11], off offset:8
.LBB2_87:                               ;   in Loop: Header=BB2_30 Depth=1
	s_wait_xcnt 0x0
	s_or_b32 exec_lo, exec_lo, s16
	v_cmp_lt_u64_e64 vcc_lo, s[10:11], 57
	v_lshlrev_b64_e32 v[32:33], 12, v[32:33]
	v_and_b32_e32 v4, 0xffffff1f, v4
	s_lshl_b32 s3, s12, 2
	s_delay_alu instid0(SALU_CYCLE_1) | instskip(SKIP_1) | instid1(VALU_DEP_3)
	s_add_co_i32 s3, s3, 28
	v_cndmask_b32_e32 v1, 0, v28, vcc_lo
	v_add_nc_u64_e32 v[26:27], v[26:27], v[32:33]
	s_delay_alu instid0(VALU_DEP_2) | instskip(NEXT) | instid1(VALU_DEP_2)
	v_or_b32_e32 v1, v4, v1
	v_readfirstlane_b32 s16, v26
	s_delay_alu instid0(VALU_DEP_3) | instskip(NEXT) | instid1(VALU_DEP_3)
	v_readfirstlane_b32 s17, v27
	v_and_or_b32 v4, 0x1e0, s3, v1
	s_clause 0x3
	global_store_b128 v0, v[4:7], s[16:17]
	global_store_b128 v0, v[12:15], s[16:17] offset:16
	global_store_b128 v0, v[16:19], s[16:17] offset:32
	;; [unrolled: 1-line block ×3, first 2 shown]
	s_wait_xcnt 0x0
	s_and_saveexec_b32 s3, s2
	s_cbranch_execz .LBB2_95
; %bb.88:                               ;   in Loop: Header=BB2_30 Depth=1
	s_clause 0x1
	global_load_b64 v[16:17], v9, s[4:5] offset:32 scope:SCOPE_SYS
	global_load_b64 v[4:5], v9, s[4:5] offset:40
	s_mov_b32 s16, exec_lo
	v_dual_mov_b32 v14, s14 :: v_dual_mov_b32 v15, s15
	s_wait_loadcnt 0x0
	v_and_b32_e32 v5, s15, v5
	v_and_b32_e32 v4, s14, v4
	s_delay_alu instid0(VALU_DEP_1) | instskip(NEXT) | instid1(VALU_DEP_1)
	v_mul_u64_e32 v[4:5], 24, v[4:5]
	v_add_nc_u64_e32 v[12:13], v[24:25], v[4:5]
	global_store_b64 v[12:13], v[16:17], off
	global_wb scope:SCOPE_SYS
	s_wait_storecnt 0x0
	s_wait_xcnt 0x0
	global_atomic_cmpswap_b64 v[6:7], v9, v[14:17], s[4:5] offset:32 th:TH_ATOMIC_RETURN scope:SCOPE_SYS
	s_wait_loadcnt 0x0
	v_cmpx_ne_u64_e64 v[6:7], v[16:17]
	s_cbranch_execz .LBB2_91
; %bb.89:                               ;   in Loop: Header=BB2_30 Depth=1
	s_mov_b32 s17, 0
.LBB2_90:                               ;   Parent Loop BB2_30 Depth=1
                                        ; =>  This Inner Loop Header: Depth=2
	v_dual_mov_b32 v4, s14 :: v_dual_mov_b32 v5, s15
	s_sleep 1
	global_store_b64 v[12:13], v[6:7], off
	global_wb scope:SCOPE_SYS
	s_wait_storecnt 0x0
	s_wait_xcnt 0x0
	global_atomic_cmpswap_b64 v[4:5], v9, v[4:7], s[4:5] offset:32 th:TH_ATOMIC_RETURN scope:SCOPE_SYS
	s_wait_loadcnt 0x0
	v_cmp_eq_u64_e32 vcc_lo, v[4:5], v[6:7]
	v_mov_b64_e32 v[6:7], v[4:5]
	s_or_b32 s17, vcc_lo, s17
	s_delay_alu instid0(SALU_CYCLE_1)
	s_and_not1_b32 exec_lo, exec_lo, s17
	s_cbranch_execnz .LBB2_90
.LBB2_91:                               ;   in Loop: Header=BB2_30 Depth=1
	s_or_b32 exec_lo, exec_lo, s16
	global_load_b64 v[4:5], v9, s[4:5] offset:16
	s_mov_b32 s17, exec_lo
	s_mov_b32 s16, exec_lo
	v_mbcnt_lo_u32_b32 v1, s17, 0
	s_wait_xcnt 0x0
	s_delay_alu instid0(VALU_DEP_1)
	v_cmpx_eq_u32_e32 0, v1
	s_cbranch_execz .LBB2_93
; %bb.92:                               ;   in Loop: Header=BB2_30 Depth=1
	s_bcnt1_i32_b32 s17, s17
	s_delay_alu instid0(SALU_CYCLE_1)
	v_mov_b32_e32 v8, s17
	global_wb scope:SCOPE_SYS
	s_wait_loadcnt 0x0
	s_wait_storecnt 0x0
	global_atomic_add_u64 v[4:5], v[8:9], off offset:8 scope:SCOPE_SYS
.LBB2_93:                               ;   in Loop: Header=BB2_30 Depth=1
	s_wait_xcnt 0x0
	s_or_b32 exec_lo, exec_lo, s16
	s_wait_loadcnt 0x0
	global_load_b64 v[6:7], v[4:5], off offset:16
	s_wait_loadcnt 0x0
	v_cmp_eq_u64_e32 vcc_lo, 0, v[6:7]
	s_cbranch_vccnz .LBB2_95
; %bb.94:                               ;   in Loop: Header=BB2_30 Depth=1
	global_load_b32 v8, v[4:5], off offset:24
	s_wait_loadcnt 0x0
	v_readfirstlane_b32 s16, v8
	global_wb scope:SCOPE_SYS
	s_wait_storecnt 0x0
	s_wait_xcnt 0x0
	global_store_b64 v[6:7], v[8:9], off scope:SCOPE_SYS
	s_and_b32 m0, s16, 0xffffff
	s_sendmsg sendmsg(MSG_INTERRUPT)
.LBB2_95:                               ;   in Loop: Header=BB2_30 Depth=1
	s_wait_xcnt 0x0
	s_or_b32 exec_lo, exec_lo, s3
	v_mov_b32_e32 v1, v9
	s_delay_alu instid0(VALU_DEP_1)
	v_add_nc_u64_e32 v[4:5], v[26:27], v[0:1]
	s_branch .LBB2_99
.LBB2_96:                               ;   in Loop: Header=BB2_99 Depth=2
	s_wait_xcnt 0x0
	s_or_b32 exec_lo, exec_lo, s3
	s_delay_alu instid0(VALU_DEP_1)
	v_readfirstlane_b32 s3, v1
	s_cmp_eq_u32 s3, 0
	s_cbranch_scc1 .LBB2_98
; %bb.97:                               ;   in Loop: Header=BB2_99 Depth=2
	s_sleep 1
	s_cbranch_execnz .LBB2_99
	s_branch .LBB2_101
.LBB2_98:                               ;   in Loop: Header=BB2_30 Depth=1
	s_branch .LBB2_101
.LBB2_99:                               ;   Parent Loop BB2_30 Depth=1
                                        ; =>  This Inner Loop Header: Depth=2
	v_mov_b32_e32 v1, 1
	s_and_saveexec_b32 s3, s2
	s_cbranch_execz .LBB2_96
; %bb.100:                              ;   in Loop: Header=BB2_99 Depth=2
	global_load_b32 v1, v[30:31], off offset:20 scope:SCOPE_SYS
	s_wait_loadcnt 0x0
	global_inv scope:SCOPE_SYS
	v_and_b32_e32 v1, 1, v1
	s_branch .LBB2_96
.LBB2_101:                              ;   in Loop: Header=BB2_30 Depth=1
	global_load_b64 v[4:5], v[4:5], off
	s_wait_xcnt 0x0
	s_and_saveexec_b32 s16, s2
	s_cbranch_execz .LBB2_29
; %bb.102:                              ;   in Loop: Header=BB2_30 Depth=1
	s_clause 0x2
	global_load_b64 v[6:7], v9, s[4:5] offset:40
	global_load_b64 v[16:17], v9, s[4:5] offset:24 scope:SCOPE_SYS
	global_load_b64 v[12:13], v9, s[4:5]
	s_wait_loadcnt 0x2
	v_readfirstlane_b32 s22, v6
	v_readfirstlane_b32 s23, v7
	s_add_nc_u64 s[2:3], s[22:23], 1
	s_delay_alu instid0(SALU_CYCLE_1) | instskip(NEXT) | instid1(SALU_CYCLE_1)
	s_add_nc_u64 s[14:15], s[2:3], s[14:15]
	s_cmp_eq_u64 s[14:15], 0
	s_cselect_b32 s3, s3, s15
	s_cselect_b32 s2, s2, s14
	s_delay_alu instid0(SALU_CYCLE_1) | instskip(SKIP_1) | instid1(SALU_CYCLE_1)
	v_dual_mov_b32 v15, s3 :: v_dual_mov_b32 v14, s2
	s_and_b64 s[14:15], s[2:3], s[22:23]
	s_mul_u64 s[14:15], s[14:15], 24
	s_wait_loadcnt 0x0
	v_add_nc_u64_e32 v[6:7], s[14:15], v[12:13]
	global_store_b64 v[6:7], v[16:17], off
	global_wb scope:SCOPE_SYS
	s_wait_storecnt 0x0
	s_wait_xcnt 0x0
	global_atomic_cmpswap_b64 v[14:15], v9, v[14:17], s[4:5] offset:24 th:TH_ATOMIC_RETURN scope:SCOPE_SYS
	s_wait_loadcnt 0x0
	v_cmp_ne_u64_e32 vcc_lo, v[14:15], v[16:17]
	s_and_b32 exec_lo, exec_lo, vcc_lo
	s_cbranch_execz .LBB2_29
; %bb.103:                              ;   in Loop: Header=BB2_30 Depth=1
	s_mov_b32 s14, 0
.LBB2_104:                              ;   Parent Loop BB2_30 Depth=1
                                        ; =>  This Inner Loop Header: Depth=2
	v_dual_mov_b32 v12, s2 :: v_dual_mov_b32 v13, s3
	s_sleep 1
	global_store_b64 v[6:7], v[14:15], off
	global_wb scope:SCOPE_SYS
	s_wait_storecnt 0x0
	s_wait_xcnt 0x0
	global_atomic_cmpswap_b64 v[12:13], v9, v[12:15], s[4:5] offset:24 th:TH_ATOMIC_RETURN scope:SCOPE_SYS
	s_wait_loadcnt 0x0
	v_cmp_eq_u64_e32 vcc_lo, v[12:13], v[14:15]
	v_mov_b64_e32 v[14:15], v[12:13]
	s_or_b32 s14, vcc_lo, s14
	s_delay_alu instid0(SALU_CYCLE_1)
	s_and_not1_b32 exec_lo, exec_lo, s14
	s_cbranch_execnz .LBB2_104
	s_branch .LBB2_29
.LBB2_105:
	s_branch .LBB2_134
.LBB2_106:
                                        ; implicit-def: $vgpr4_vgpr5
	s_cbranch_execz .LBB2_134
; %bb.107:
	v_readfirstlane_b32 s2, v29
	s_wait_loadcnt 0x0
	v_mov_b64_e32 v[4:5], 0
	s_delay_alu instid0(VALU_DEP_2)
	v_cmp_eq_u32_e64 s2, s2, v29
	s_and_saveexec_b32 s3, s2
	s_cbranch_execz .LBB2_113
; %bb.108:
	v_mov_b32_e32 v1, 0
	s_mov_b32 s6, exec_lo
	global_load_b64 v[6:7], v1, s[4:5] offset:24 scope:SCOPE_SYS
	s_wait_loadcnt 0x0
	global_inv scope:SCOPE_SYS
	s_clause 0x1
	global_load_b64 v[4:5], v1, s[4:5] offset:40
	global_load_b64 v[8:9], v1, s[4:5]
	s_wait_loadcnt 0x1
	v_and_b32_e32 v4, v4, v6
	v_and_b32_e32 v5, v5, v7
	s_delay_alu instid0(VALU_DEP_1) | instskip(SKIP_1) | instid1(VALU_DEP_1)
	v_mul_u64_e32 v[4:5], 24, v[4:5]
	s_wait_loadcnt 0x0
	v_add_nc_u64_e32 v[4:5], v[8:9], v[4:5]
	global_load_b64 v[4:5], v[4:5], off scope:SCOPE_SYS
	s_wait_xcnt 0x0
	s_wait_loadcnt 0x0
	global_atomic_cmpswap_b64 v[4:5], v1, v[4:7], s[4:5] offset:24 th:TH_ATOMIC_RETURN scope:SCOPE_SYS
	s_wait_loadcnt 0x0
	global_inv scope:SCOPE_SYS
	s_wait_xcnt 0x0
	v_cmpx_ne_u64_e64 v[4:5], v[6:7]
	s_cbranch_execz .LBB2_112
; %bb.109:
	s_mov_b32 s7, 0
.LBB2_110:                              ; =>This Inner Loop Header: Depth=1
	s_sleep 1
	s_clause 0x1
	global_load_b64 v[8:9], v1, s[4:5] offset:40
	global_load_b64 v[10:11], v1, s[4:5]
	v_mov_b64_e32 v[6:7], v[4:5]
	s_wait_loadcnt 0x1
	s_delay_alu instid0(VALU_DEP_1) | instskip(NEXT) | instid1(VALU_DEP_2)
	v_and_b32_e32 v4, v8, v6
	v_and_b32_e32 v8, v9, v7
	s_wait_loadcnt 0x0
	s_delay_alu instid0(VALU_DEP_2) | instskip(NEXT) | instid1(VALU_DEP_1)
	v_mad_nc_u64_u32 v[4:5], v4, 24, v[10:11]
	v_mad_u32 v5, v8, 24, v5
	global_load_b64 v[4:5], v[4:5], off scope:SCOPE_SYS
	s_wait_xcnt 0x0
	s_wait_loadcnt 0x0
	global_atomic_cmpswap_b64 v[4:5], v1, v[4:7], s[4:5] offset:24 th:TH_ATOMIC_RETURN scope:SCOPE_SYS
	s_wait_loadcnt 0x0
	global_inv scope:SCOPE_SYS
	v_cmp_eq_u64_e32 vcc_lo, v[4:5], v[6:7]
	s_or_b32 s7, vcc_lo, s7
	s_wait_xcnt 0x0
	s_and_not1_b32 exec_lo, exec_lo, s7
	s_cbranch_execnz .LBB2_110
; %bb.111:
	s_or_b32 exec_lo, exec_lo, s7
.LBB2_112:
	s_delay_alu instid0(SALU_CYCLE_1)
	s_or_b32 exec_lo, exec_lo, s6
.LBB2_113:
	s_delay_alu instid0(SALU_CYCLE_1)
	s_or_b32 exec_lo, exec_lo, s3
	v_readfirstlane_b32 s6, v4
	v_mov_b32_e32 v1, 0
	v_readfirstlane_b32 s7, v5
	s_mov_b32 s3, exec_lo
	s_clause 0x1
	global_load_b64 v[10:11], v1, s[4:5] offset:40
	global_load_b128 v[6:9], v1, s[4:5]
	s_wait_loadcnt 0x1
	v_and_b32_e32 v4, s6, v10
	v_and_b32_e32 v5, s7, v11
	s_delay_alu instid0(VALU_DEP_1) | instskip(SKIP_1) | instid1(VALU_DEP_1)
	v_mul_u64_e32 v[10:11], 24, v[4:5]
	s_wait_loadcnt 0x0
	v_add_nc_u64_e32 v[10:11], v[6:7], v[10:11]
	s_wait_xcnt 0x0
	s_and_saveexec_b32 s10, s2
	s_cbranch_execz .LBB2_115
; %bb.114:
	v_mov_b64_e32 v[14:15], 0x100000002
	v_dual_mov_b32 v12, s3 :: v_dual_mov_b32 v13, v1
	global_store_b128 v[10:11], v[12:15], off offset:8
.LBB2_115:
	s_wait_xcnt 0x0
	s_or_b32 exec_lo, exec_lo, s10
	v_lshlrev_b64_e32 v[4:5], 12, v[4:5]
	s_mov_b32 s12, 0
	v_and_or_b32 v2, 0xffffff1f, v2, 32
	s_mov_b32 s13, s12
	s_mov_b32 s14, s12
	;; [unrolled: 1-line block ×3, first 2 shown]
	v_mov_b64_e32 v[12:13], s[12:13]
	v_add_nc_u64_e32 v[8:9], v[8:9], v[4:5]
	v_mov_b64_e32 v[14:15], s[14:15]
	v_dual_mov_b32 v4, v1 :: v_dual_mov_b32 v5, v1
	s_delay_alu instid0(VALU_DEP_3) | instskip(NEXT) | instid1(VALU_DEP_4)
	v_readfirstlane_b32 s10, v8
	v_readfirstlane_b32 s11, v9
	s_clause 0x3
	global_store_b128 v0, v[2:5], s[10:11]
	global_store_b128 v0, v[12:15], s[10:11] offset:16
	global_store_b128 v0, v[12:15], s[10:11] offset:32
	;; [unrolled: 1-line block ×3, first 2 shown]
	s_wait_xcnt 0x0
	s_and_saveexec_b32 s3, s2
	s_cbranch_execz .LBB2_123
; %bb.116:
	v_dual_mov_b32 v12, 0 :: v_dual_mov_b32 v15, s7
	s_mov_b32 s10, exec_lo
	s_clause 0x1
	global_load_b64 v[16:17], v12, s[4:5] offset:32 scope:SCOPE_SYS
	global_load_b64 v[2:3], v12, s[4:5] offset:40
	s_wait_loadcnt 0x0
	v_dual_mov_b32 v14, s6 :: v_dual_bitop2_b32 v3, s7, v3 bitop3:0x40
	v_and_b32_e32 v2, s6, v2
	s_delay_alu instid0(VALU_DEP_1) | instskip(NEXT) | instid1(VALU_DEP_1)
	v_mul_u64_e32 v[2:3], 24, v[2:3]
	v_add_nc_u64_e32 v[6:7], v[6:7], v[2:3]
	global_store_b64 v[6:7], v[16:17], off
	global_wb scope:SCOPE_SYS
	s_wait_storecnt 0x0
	s_wait_xcnt 0x0
	global_atomic_cmpswap_b64 v[4:5], v12, v[14:17], s[4:5] offset:32 th:TH_ATOMIC_RETURN scope:SCOPE_SYS
	s_wait_loadcnt 0x0
	v_cmpx_ne_u64_e64 v[4:5], v[16:17]
	s_cbranch_execz .LBB2_119
; %bb.117:
	s_mov_b32 s11, 0
.LBB2_118:                              ; =>This Inner Loop Header: Depth=1
	v_dual_mov_b32 v2, s6 :: v_dual_mov_b32 v3, s7
	s_sleep 1
	global_store_b64 v[6:7], v[4:5], off
	global_wb scope:SCOPE_SYS
	s_wait_storecnt 0x0
	s_wait_xcnt 0x0
	global_atomic_cmpswap_b64 v[2:3], v12, v[2:5], s[4:5] offset:32 th:TH_ATOMIC_RETURN scope:SCOPE_SYS
	s_wait_loadcnt 0x0
	v_cmp_eq_u64_e32 vcc_lo, v[2:3], v[4:5]
	v_mov_b64_e32 v[4:5], v[2:3]
	s_or_b32 s11, vcc_lo, s11
	s_delay_alu instid0(SALU_CYCLE_1)
	s_and_not1_b32 exec_lo, exec_lo, s11
	s_cbranch_execnz .LBB2_118
.LBB2_119:
	s_or_b32 exec_lo, exec_lo, s10
	v_mov_b32_e32 v5, 0
	s_mov_b32 s11, exec_lo
	s_mov_b32 s10, exec_lo
	v_mbcnt_lo_u32_b32 v4, s11, 0
	global_load_b64 v[2:3], v5, s[4:5] offset:16
	s_wait_xcnt 0x0
	v_cmpx_eq_u32_e32 0, v4
	s_cbranch_execz .LBB2_121
; %bb.120:
	s_bcnt1_i32_b32 s11, s11
	s_delay_alu instid0(SALU_CYCLE_1)
	v_mov_b32_e32 v4, s11
	global_wb scope:SCOPE_SYS
	s_wait_loadcnt 0x0
	s_wait_storecnt 0x0
	global_atomic_add_u64 v[2:3], v[4:5], off offset:8 scope:SCOPE_SYS
.LBB2_121:
	s_wait_xcnt 0x0
	s_or_b32 exec_lo, exec_lo, s10
	s_wait_loadcnt 0x0
	global_load_b64 v[4:5], v[2:3], off offset:16
	s_wait_loadcnt 0x0
	v_cmp_eq_u64_e32 vcc_lo, 0, v[4:5]
	s_cbranch_vccnz .LBB2_123
; %bb.122:
	global_load_b32 v2, v[2:3], off offset:24
	s_wait_xcnt 0x0
	v_mov_b32_e32 v3, 0
	s_wait_loadcnt 0x0
	v_readfirstlane_b32 s10, v2
	global_wb scope:SCOPE_SYS
	s_wait_storecnt 0x0
	global_store_b64 v[4:5], v[2:3], off scope:SCOPE_SYS
	s_and_b32 m0, s10, 0xffffff
	s_sendmsg sendmsg(MSG_INTERRUPT)
.LBB2_123:
	s_wait_xcnt 0x0
	s_or_b32 exec_lo, exec_lo, s3
	v_add_nc_u64_e32 v[2:3], v[8:9], v[0:1]
	s_branch .LBB2_127
.LBB2_124:                              ;   in Loop: Header=BB2_127 Depth=1
	s_wait_xcnt 0x0
	s_or_b32 exec_lo, exec_lo, s3
	s_delay_alu instid0(VALU_DEP_1)
	v_readfirstlane_b32 s3, v1
	s_cmp_eq_u32 s3, 0
	s_cbranch_scc1 .LBB2_126
; %bb.125:                              ;   in Loop: Header=BB2_127 Depth=1
	s_sleep 1
	s_cbranch_execnz .LBB2_127
	s_branch .LBB2_129
.LBB2_126:
	s_branch .LBB2_129
.LBB2_127:                              ; =>This Inner Loop Header: Depth=1
	v_mov_b32_e32 v1, 1
	s_and_saveexec_b32 s3, s2
	s_cbranch_execz .LBB2_124
; %bb.128:                              ;   in Loop: Header=BB2_127 Depth=1
	global_load_b32 v1, v[10:11], off offset:20 scope:SCOPE_SYS
	s_wait_loadcnt 0x0
	global_inv scope:SCOPE_SYS
	v_and_b32_e32 v1, 1, v1
	s_branch .LBB2_124
.LBB2_129:
	global_load_b64 v[4:5], v[2:3], off
	s_wait_xcnt 0x0
	s_and_saveexec_b32 s10, s2
	s_cbranch_execz .LBB2_133
; %bb.130:
	v_mov_b32_e32 v1, 0
	s_clause 0x2
	global_load_b64 v[2:3], v1, s[4:5] offset:40
	global_load_b64 v[10:11], v1, s[4:5] offset:24 scope:SCOPE_SYS
	global_load_b64 v[6:7], v1, s[4:5]
	s_wait_loadcnt 0x2
	v_readfirstlane_b32 s12, v2
	v_readfirstlane_b32 s13, v3
	s_add_nc_u64 s[2:3], s[12:13], 1
	s_delay_alu instid0(SALU_CYCLE_1) | instskip(NEXT) | instid1(SALU_CYCLE_1)
	s_add_nc_u64 s[6:7], s[2:3], s[6:7]
	s_cmp_eq_u64 s[6:7], 0
	s_cselect_b32 s3, s3, s7
	s_cselect_b32 s2, s2, s6
	v_mov_b32_e32 v9, s3
	s_and_b64 s[6:7], s[2:3], s[12:13]
	v_mov_b32_e32 v8, s2
	s_mul_u64 s[6:7], s[6:7], 24
	s_wait_loadcnt 0x0
	v_add_nc_u64_e32 v[2:3], s[6:7], v[6:7]
	global_store_b64 v[2:3], v[10:11], off
	global_wb scope:SCOPE_SYS
	s_wait_storecnt 0x0
	s_wait_xcnt 0x0
	global_atomic_cmpswap_b64 v[8:9], v1, v[8:11], s[4:5] offset:24 th:TH_ATOMIC_RETURN scope:SCOPE_SYS
	s_wait_loadcnt 0x0
	v_cmp_ne_u64_e32 vcc_lo, v[8:9], v[10:11]
	s_and_b32 exec_lo, exec_lo, vcc_lo
	s_cbranch_execz .LBB2_133
; %bb.131:
	s_mov_b32 s6, 0
.LBB2_132:                              ; =>This Inner Loop Header: Depth=1
	v_dual_mov_b32 v6, s2 :: v_dual_mov_b32 v7, s3
	s_sleep 1
	global_store_b64 v[2:3], v[8:9], off
	global_wb scope:SCOPE_SYS
	s_wait_storecnt 0x0
	s_wait_xcnt 0x0
	global_atomic_cmpswap_b64 v[6:7], v1, v[6:9], s[4:5] offset:24 th:TH_ATOMIC_RETURN scope:SCOPE_SYS
	s_wait_loadcnt 0x0
	v_cmp_eq_u64_e32 vcc_lo, v[6:7], v[8:9]
	v_mov_b64_e32 v[8:9], v[6:7]
	s_or_b32 s6, vcc_lo, s6
	s_delay_alu instid0(SALU_CYCLE_1)
	s_and_not1_b32 exec_lo, exec_lo, s6
	s_cbranch_execnz .LBB2_132
.LBB2_133:
	s_or_b32 exec_lo, exec_lo, s10
.LBB2_134:
	v_readfirstlane_b32 s2, v29
	s_wait_loadcnt 0x0
	v_mov_b64_e32 v[2:3], 0
	s_delay_alu instid0(VALU_DEP_2)
	v_cmp_eq_u32_e64 s2, s2, v29
	s_and_saveexec_b32 s3, s2
	s_cbranch_execz .LBB2_140
; %bb.135:
	v_mov_b32_e32 v1, 0
	s_mov_b32 s6, exec_lo
	global_load_b64 v[8:9], v1, s[4:5] offset:24 scope:SCOPE_SYS
	s_wait_loadcnt 0x0
	global_inv scope:SCOPE_SYS
	s_clause 0x1
	global_load_b64 v[2:3], v1, s[4:5] offset:40
	global_load_b64 v[6:7], v1, s[4:5]
	s_wait_loadcnt 0x1
	v_and_b32_e32 v2, v2, v8
	v_and_b32_e32 v3, v3, v9
	s_delay_alu instid0(VALU_DEP_1) | instskip(SKIP_1) | instid1(VALU_DEP_1)
	v_mul_u64_e32 v[2:3], 24, v[2:3]
	s_wait_loadcnt 0x0
	v_add_nc_u64_e32 v[2:3], v[6:7], v[2:3]
	global_load_b64 v[6:7], v[2:3], off scope:SCOPE_SYS
	s_wait_xcnt 0x0
	s_wait_loadcnt 0x0
	global_atomic_cmpswap_b64 v[2:3], v1, v[6:9], s[4:5] offset:24 th:TH_ATOMIC_RETURN scope:SCOPE_SYS
	s_wait_loadcnt 0x0
	global_inv scope:SCOPE_SYS
	s_wait_xcnt 0x0
	v_cmpx_ne_u64_e64 v[2:3], v[8:9]
	s_cbranch_execz .LBB2_139
; %bb.136:
	s_mov_b32 s7, 0
.LBB2_137:                              ; =>This Inner Loop Header: Depth=1
	s_sleep 1
	s_clause 0x1
	global_load_b64 v[6:7], v1, s[4:5] offset:40
	global_load_b64 v[10:11], v1, s[4:5]
	v_mov_b64_e32 v[8:9], v[2:3]
	s_wait_loadcnt 0x1
	s_delay_alu instid0(VALU_DEP_1) | instskip(NEXT) | instid1(VALU_DEP_2)
	v_and_b32_e32 v2, v6, v8
	v_and_b32_e32 v6, v7, v9
	s_wait_loadcnt 0x0
	s_delay_alu instid0(VALU_DEP_2) | instskip(NEXT) | instid1(VALU_DEP_1)
	v_mad_nc_u64_u32 v[2:3], v2, 24, v[10:11]
	v_mad_u32 v3, v6, 24, v3
	global_load_b64 v[6:7], v[2:3], off scope:SCOPE_SYS
	s_wait_xcnt 0x0
	s_wait_loadcnt 0x0
	global_atomic_cmpswap_b64 v[2:3], v1, v[6:9], s[4:5] offset:24 th:TH_ATOMIC_RETURN scope:SCOPE_SYS
	s_wait_loadcnt 0x0
	global_inv scope:SCOPE_SYS
	v_cmp_eq_u64_e32 vcc_lo, v[2:3], v[8:9]
	s_or_b32 s7, vcc_lo, s7
	s_wait_xcnt 0x0
	s_and_not1_b32 exec_lo, exec_lo, s7
	s_cbranch_execnz .LBB2_137
; %bb.138:
	s_or_b32 exec_lo, exec_lo, s7
.LBB2_139:
	s_delay_alu instid0(SALU_CYCLE_1)
	s_or_b32 exec_lo, exec_lo, s6
.LBB2_140:
	s_delay_alu instid0(SALU_CYCLE_1)
	s_or_b32 exec_lo, exec_lo, s3
	v_readfirstlane_b32 s6, v2
	v_mov_b32_e32 v1, 0
	v_readfirstlane_b32 s7, v3
	s_mov_b32 s3, exec_lo
	s_clause 0x1
	global_load_b64 v[6:7], v1, s[4:5] offset:40
	global_load_b128 v[8:11], v1, s[4:5]
	s_wait_loadcnt 0x1
	v_and_b32_e32 v2, s6, v6
	v_and_b32_e32 v3, s7, v7
	s_delay_alu instid0(VALU_DEP_1) | instskip(SKIP_1) | instid1(VALU_DEP_1)
	v_mul_u64_e32 v[6:7], 24, v[2:3]
	s_wait_loadcnt 0x0
	v_add_nc_u64_e32 v[12:13], v[8:9], v[6:7]
	s_wait_xcnt 0x0
	s_and_saveexec_b32 s10, s2
	s_cbranch_execz .LBB2_142
; %bb.141:
	v_mov_b64_e32 v[16:17], 0x100000002
	v_dual_mov_b32 v14, s3 :: v_dual_mov_b32 v15, v1
	global_store_b128 v[12:13], v[14:17], off offset:8
.LBB2_142:
	s_wait_xcnt 0x0
	s_or_b32 exec_lo, exec_lo, s10
	v_lshlrev_b64_e32 v[2:3], 12, v[2:3]
	s_mul_i32 s3, s19, s20
	s_and_b32 s10, 0xffff, s21
	s_mov_b32 s12, 0
	s_mul_i32 s3, s3, s10
	s_mov_b32 s14, s12
	s_mov_b32 s15, s12
	v_add_nc_u64_e32 v[10:11], v[10:11], v[2:3]
	s_mov_b32 s13, s12
	s_lshr_b32 s3, s3, 3
	v_mov_b64_e32 v[16:17], s[14:15]
	v_mov_b64_e32 v[14:15], s[12:13]
	v_and_or_b32 v4, 0xffffff1f, v4, 32
	v_dual_mov_b32 v7, v1 :: v_dual_mov_b32 v6, s3
	v_readfirstlane_b32 s10, v10
	v_readfirstlane_b32 s11, v11
	s_clause 0x3
	global_store_b128 v0, v[4:7], s[10:11]
	global_store_b128 v0, v[14:17], s[10:11] offset:16
	global_store_b128 v0, v[14:17], s[10:11] offset:32
	;; [unrolled: 1-line block ×3, first 2 shown]
	s_wait_xcnt 0x0
	s_and_saveexec_b32 s3, s2
	s_cbranch_execz .LBB2_150
; %bb.143:
	v_dual_mov_b32 v14, 0 :: v_dual_mov_b32 v17, s7
	s_mov_b32 s10, exec_lo
	s_clause 0x1
	global_load_b64 v[18:19], v14, s[4:5] offset:32 scope:SCOPE_SYS
	global_load_b64 v[2:3], v14, s[4:5] offset:40
	s_wait_loadcnt 0x0
	v_dual_mov_b32 v16, s6 :: v_dual_bitop2_b32 v3, s7, v3 bitop3:0x40
	v_and_b32_e32 v2, s6, v2
	s_delay_alu instid0(VALU_DEP_1) | instskip(NEXT) | instid1(VALU_DEP_1)
	v_mul_u64_e32 v[2:3], 24, v[2:3]
	v_add_nc_u64_e32 v[6:7], v[8:9], v[2:3]
	global_store_b64 v[6:7], v[18:19], off
	global_wb scope:SCOPE_SYS
	s_wait_storecnt 0x0
	s_wait_xcnt 0x0
	global_atomic_cmpswap_b64 v[4:5], v14, v[16:19], s[4:5] offset:32 th:TH_ATOMIC_RETURN scope:SCOPE_SYS
	s_wait_loadcnt 0x0
	v_cmpx_ne_u64_e64 v[4:5], v[18:19]
	s_cbranch_execz .LBB2_146
; %bb.144:
	s_mov_b32 s11, 0
.LBB2_145:                              ; =>This Inner Loop Header: Depth=1
	v_dual_mov_b32 v2, s6 :: v_dual_mov_b32 v3, s7
	s_sleep 1
	global_store_b64 v[6:7], v[4:5], off
	global_wb scope:SCOPE_SYS
	s_wait_storecnt 0x0
	s_wait_xcnt 0x0
	global_atomic_cmpswap_b64 v[2:3], v14, v[2:5], s[4:5] offset:32 th:TH_ATOMIC_RETURN scope:SCOPE_SYS
	s_wait_loadcnt 0x0
	v_cmp_eq_u64_e32 vcc_lo, v[2:3], v[4:5]
	v_mov_b64_e32 v[4:5], v[2:3]
	s_or_b32 s11, vcc_lo, s11
	s_delay_alu instid0(SALU_CYCLE_1)
	s_and_not1_b32 exec_lo, exec_lo, s11
	s_cbranch_execnz .LBB2_145
.LBB2_146:
	s_or_b32 exec_lo, exec_lo, s10
	v_mov_b32_e32 v5, 0
	s_mov_b32 s11, exec_lo
	s_mov_b32 s10, exec_lo
	v_mbcnt_lo_u32_b32 v4, s11, 0
	global_load_b64 v[2:3], v5, s[4:5] offset:16
	s_wait_xcnt 0x0
	v_cmpx_eq_u32_e32 0, v4
	s_cbranch_execz .LBB2_148
; %bb.147:
	s_bcnt1_i32_b32 s11, s11
	s_delay_alu instid0(SALU_CYCLE_1)
	v_mov_b32_e32 v4, s11
	global_wb scope:SCOPE_SYS
	s_wait_loadcnt 0x0
	s_wait_storecnt 0x0
	global_atomic_add_u64 v[2:3], v[4:5], off offset:8 scope:SCOPE_SYS
.LBB2_148:
	s_wait_xcnt 0x0
	s_or_b32 exec_lo, exec_lo, s10
	s_wait_loadcnt 0x0
	global_load_b64 v[4:5], v[2:3], off offset:16
	s_wait_loadcnt 0x0
	v_cmp_eq_u64_e32 vcc_lo, 0, v[4:5]
	s_cbranch_vccnz .LBB2_150
; %bb.149:
	global_load_b32 v2, v[2:3], off offset:24
	s_wait_xcnt 0x0
	v_mov_b32_e32 v3, 0
	s_wait_loadcnt 0x0
	v_readfirstlane_b32 s10, v2
	global_wb scope:SCOPE_SYS
	s_wait_storecnt 0x0
	global_store_b64 v[4:5], v[2:3], off scope:SCOPE_SYS
	s_and_b32 m0, s10, 0xffffff
	s_sendmsg sendmsg(MSG_INTERRUPT)
.LBB2_150:
	s_wait_xcnt 0x0
	s_or_b32 exec_lo, exec_lo, s3
	v_add_nc_u64_e32 v[2:3], v[10:11], v[0:1]
	s_branch .LBB2_154
.LBB2_151:                              ;   in Loop: Header=BB2_154 Depth=1
	s_wait_xcnt 0x0
	s_or_b32 exec_lo, exec_lo, s3
	s_delay_alu instid0(VALU_DEP_1)
	v_readfirstlane_b32 s3, v1
	s_cmp_eq_u32 s3, 0
	s_cbranch_scc1 .LBB2_153
; %bb.152:                              ;   in Loop: Header=BB2_154 Depth=1
	s_sleep 1
	s_cbranch_execnz .LBB2_154
	s_branch .LBB2_156
.LBB2_153:
	s_branch .LBB2_156
.LBB2_154:                              ; =>This Inner Loop Header: Depth=1
	v_mov_b32_e32 v1, 1
	s_and_saveexec_b32 s3, s2
	s_cbranch_execz .LBB2_151
; %bb.155:                              ;   in Loop: Header=BB2_154 Depth=1
	global_load_b32 v1, v[12:13], off offset:20 scope:SCOPE_SYS
	s_wait_loadcnt 0x0
	global_inv scope:SCOPE_SYS
	v_and_b32_e32 v1, 1, v1
	s_branch .LBB2_151
.LBB2_156:
	global_load_b64 v[2:3], v[2:3], off
	s_wait_xcnt 0x0
	s_and_saveexec_b32 s10, s2
	s_cbranch_execz .LBB2_160
; %bb.157:
	v_mov_b32_e32 v1, 0
	s_clause 0x2
	global_load_b64 v[4:5], v1, s[4:5] offset:40
	global_load_b64 v[12:13], v1, s[4:5] offset:24 scope:SCOPE_SYS
	global_load_b64 v[6:7], v1, s[4:5]
	s_wait_loadcnt 0x2
	v_readfirstlane_b32 s12, v4
	v_readfirstlane_b32 s13, v5
	s_add_nc_u64 s[2:3], s[12:13], 1
	s_delay_alu instid0(SALU_CYCLE_1) | instskip(NEXT) | instid1(SALU_CYCLE_1)
	s_add_nc_u64 s[6:7], s[2:3], s[6:7]
	s_cmp_eq_u64 s[6:7], 0
	s_cselect_b32 s3, s3, s7
	s_cselect_b32 s2, s2, s6
	v_mov_b32_e32 v11, s3
	s_and_b64 s[6:7], s[2:3], s[12:13]
	v_mov_b32_e32 v10, s2
	s_mul_u64 s[6:7], s[6:7], 24
	s_wait_loadcnt 0x0
	v_add_nc_u64_e32 v[8:9], s[6:7], v[6:7]
	global_store_b64 v[8:9], v[12:13], off
	global_wb scope:SCOPE_SYS
	s_wait_storecnt 0x0
	s_wait_xcnt 0x0
	global_atomic_cmpswap_b64 v[6:7], v1, v[10:13], s[4:5] offset:24 th:TH_ATOMIC_RETURN scope:SCOPE_SYS
	s_wait_loadcnt 0x0
	v_cmp_ne_u64_e32 vcc_lo, v[6:7], v[12:13]
	s_and_b32 exec_lo, exec_lo, vcc_lo
	s_cbranch_execz .LBB2_160
; %bb.158:
	s_mov_b32 s6, 0
.LBB2_159:                              ; =>This Inner Loop Header: Depth=1
	v_dual_mov_b32 v4, s2 :: v_dual_mov_b32 v5, s3
	s_sleep 1
	global_store_b64 v[8:9], v[6:7], off
	global_wb scope:SCOPE_SYS
	s_wait_storecnt 0x0
	s_wait_xcnt 0x0
	global_atomic_cmpswap_b64 v[4:5], v1, v[4:7], s[4:5] offset:24 th:TH_ATOMIC_RETURN scope:SCOPE_SYS
	s_wait_loadcnt 0x0
	v_cmp_eq_u64_e32 vcc_lo, v[4:5], v[6:7]
	v_mov_b64_e32 v[6:7], v[4:5]
	s_or_b32 s6, vcc_lo, s6
	s_delay_alu instid0(SALU_CYCLE_1)
	s_and_not1_b32 exec_lo, exec_lo, s6
	s_cbranch_execnz .LBB2_159
.LBB2_160:
	s_or_b32 exec_lo, exec_lo, s10
	v_readfirstlane_b32 s2, v29
	v_mov_b64_e32 v[10:11], 0
	s_delay_alu instid0(VALU_DEP_2)
	v_cmp_eq_u32_e64 s2, s2, v29
	s_and_saveexec_b32 s3, s2
	s_cbranch_execz .LBB2_166
; %bb.161:
	v_mov_b32_e32 v1, 0
	s_mov_b32 s6, exec_lo
	global_load_b64 v[6:7], v1, s[4:5] offset:24 scope:SCOPE_SYS
	s_wait_loadcnt 0x0
	global_inv scope:SCOPE_SYS
	s_clause 0x1
	global_load_b64 v[4:5], v1, s[4:5] offset:40
	global_load_b64 v[8:9], v1, s[4:5]
	s_wait_loadcnt 0x1
	v_and_b32_e32 v4, v4, v6
	v_and_b32_e32 v5, v5, v7
	s_delay_alu instid0(VALU_DEP_1) | instskip(SKIP_1) | instid1(VALU_DEP_1)
	v_mul_u64_e32 v[4:5], 24, v[4:5]
	s_wait_loadcnt 0x0
	v_add_nc_u64_e32 v[4:5], v[8:9], v[4:5]
	global_load_b64 v[4:5], v[4:5], off scope:SCOPE_SYS
	s_wait_xcnt 0x0
	s_wait_loadcnt 0x0
	global_atomic_cmpswap_b64 v[10:11], v1, v[4:7], s[4:5] offset:24 th:TH_ATOMIC_RETURN scope:SCOPE_SYS
	s_wait_loadcnt 0x0
	global_inv scope:SCOPE_SYS
	s_wait_xcnt 0x0
	v_cmpx_ne_u64_e64 v[10:11], v[6:7]
	s_cbranch_execz .LBB2_165
; %bb.162:
	s_mov_b32 s7, 0
.LBB2_163:                              ; =>This Inner Loop Header: Depth=1
	s_sleep 1
	s_clause 0x1
	global_load_b64 v[4:5], v1, s[4:5] offset:40
	global_load_b64 v[8:9], v1, s[4:5]
	v_mov_b64_e32 v[6:7], v[10:11]
	s_wait_loadcnt 0x1
	s_delay_alu instid0(VALU_DEP_1) | instskip(SKIP_1) | instid1(VALU_DEP_1)
	v_and_b32_e32 v4, v4, v6
	s_wait_loadcnt 0x0
	v_mad_nc_u64_u32 v[8:9], v4, 24, v[8:9]
	s_delay_alu instid0(VALU_DEP_3) | instskip(NEXT) | instid1(VALU_DEP_1)
	v_and_b32_e32 v4, v5, v7
	v_mad_u32 v9, v4, 24, v9
	global_load_b64 v[4:5], v[8:9], off scope:SCOPE_SYS
	s_wait_xcnt 0x0
	s_wait_loadcnt 0x0
	global_atomic_cmpswap_b64 v[10:11], v1, v[4:7], s[4:5] offset:24 th:TH_ATOMIC_RETURN scope:SCOPE_SYS
	s_wait_loadcnt 0x0
	global_inv scope:SCOPE_SYS
	v_cmp_eq_u64_e32 vcc_lo, v[10:11], v[6:7]
	s_or_b32 s7, vcc_lo, s7
	s_wait_xcnt 0x0
	s_and_not1_b32 exec_lo, exec_lo, s7
	s_cbranch_execnz .LBB2_163
; %bb.164:
	s_or_b32 exec_lo, exec_lo, s7
.LBB2_165:
	s_delay_alu instid0(SALU_CYCLE_1)
	s_or_b32 exec_lo, exec_lo, s6
.LBB2_166:
	s_delay_alu instid0(SALU_CYCLE_1)
	s_or_b32 exec_lo, exec_lo, s3
	v_readfirstlane_b32 s6, v10
	v_mov_b32_e32 v5, 0
	v_readfirstlane_b32 s7, v11
	s_mov_b32 s3, exec_lo
	s_clause 0x1
	global_load_b64 v[12:13], v5, s[4:5] offset:40
	global_load_b128 v[6:9], v5, s[4:5]
	s_wait_loadcnt 0x1
	v_and_b32_e32 v12, s6, v12
	v_and_b32_e32 v13, s7, v13
	s_delay_alu instid0(VALU_DEP_1) | instskip(SKIP_1) | instid1(VALU_DEP_1)
	v_mul_u64_e32 v[10:11], 24, v[12:13]
	s_wait_loadcnt 0x0
	v_add_nc_u64_e32 v[10:11], v[6:7], v[10:11]
	s_wait_xcnt 0x0
	s_and_saveexec_b32 s10, s2
	s_cbranch_execz .LBB2_168
; %bb.167:
	v_mov_b32_e32 v4, s3
	v_mov_b64_e32 v[16:17], 0x100000002
	s_delay_alu instid0(VALU_DEP_2)
	v_mov_b64_e32 v[14:15], v[4:5]
	global_store_b128 v[10:11], v[14:17], off offset:8
.LBB2_168:
	s_wait_xcnt 0x0
	s_or_b32 exec_lo, exec_lo, s10
	v_lshlrev_b64_e32 v[12:13], 12, v[12:13]
	s_mov_b32 s12, 0
	v_and_or_b32 v2, 0xffffff1d, v2, 34
	s_mov_b32 s13, s12
	s_mov_b32 s14, s12
	;; [unrolled: 1-line block ×3, first 2 shown]
	v_mov_b32_e32 v4, 8
	v_add_nc_u64_e32 v[8:9], v[8:9], v[12:13]
	v_mov_b64_e32 v[12:13], s[12:13]
	v_mov_b64_e32 v[14:15], s[14:15]
	s_delay_alu instid0(VALU_DEP_3) | instskip(NEXT) | instid1(VALU_DEP_4)
	v_readfirstlane_b32 s10, v8
	v_readfirstlane_b32 s11, v9
	s_clause 0x3
	global_store_b128 v0, v[2:5], s[10:11]
	global_store_b128 v0, v[12:15], s[10:11] offset:16
	global_store_b128 v0, v[12:15], s[10:11] offset:32
	;; [unrolled: 1-line block ×3, first 2 shown]
	s_wait_xcnt 0x0
	s_and_saveexec_b32 s3, s2
	s_cbranch_execz .LBB2_176
; %bb.169:
	v_dual_mov_b32 v8, 0 :: v_dual_mov_b32 v13, s7
	s_mov_b32 s10, exec_lo
	s_clause 0x1
	global_load_b64 v[14:15], v8, s[4:5] offset:32 scope:SCOPE_SYS
	global_load_b64 v[0:1], v8, s[4:5] offset:40
	s_wait_loadcnt 0x0
	v_dual_mov_b32 v12, s6 :: v_dual_bitop2_b32 v1, s7, v1 bitop3:0x40
	v_and_b32_e32 v0, s6, v0
	s_delay_alu instid0(VALU_DEP_1) | instskip(NEXT) | instid1(VALU_DEP_1)
	v_mul_u64_e32 v[0:1], 24, v[0:1]
	v_add_nc_u64_e32 v[4:5], v[6:7], v[0:1]
	global_store_b64 v[4:5], v[14:15], off
	global_wb scope:SCOPE_SYS
	s_wait_storecnt 0x0
	s_wait_xcnt 0x0
	global_atomic_cmpswap_b64 v[2:3], v8, v[12:15], s[4:5] offset:32 th:TH_ATOMIC_RETURN scope:SCOPE_SYS
	s_wait_loadcnt 0x0
	v_cmpx_ne_u64_e64 v[2:3], v[14:15]
	s_cbranch_execz .LBB2_172
; %bb.170:
	s_mov_b32 s11, 0
.LBB2_171:                              ; =>This Inner Loop Header: Depth=1
	v_dual_mov_b32 v0, s6 :: v_dual_mov_b32 v1, s7
	s_sleep 1
	global_store_b64 v[4:5], v[2:3], off
	global_wb scope:SCOPE_SYS
	s_wait_storecnt 0x0
	s_wait_xcnt 0x0
	global_atomic_cmpswap_b64 v[0:1], v8, v[0:3], s[4:5] offset:32 th:TH_ATOMIC_RETURN scope:SCOPE_SYS
	s_wait_loadcnt 0x0
	v_cmp_eq_u64_e32 vcc_lo, v[0:1], v[2:3]
	v_mov_b64_e32 v[2:3], v[0:1]
	s_or_b32 s11, vcc_lo, s11
	s_delay_alu instid0(SALU_CYCLE_1)
	s_and_not1_b32 exec_lo, exec_lo, s11
	s_cbranch_execnz .LBB2_171
.LBB2_172:
	s_or_b32 exec_lo, exec_lo, s10
	v_mov_b32_e32 v3, 0
	s_mov_b32 s11, exec_lo
	s_mov_b32 s10, exec_lo
	v_mbcnt_lo_u32_b32 v2, s11, 0
	global_load_b64 v[0:1], v3, s[4:5] offset:16
	s_wait_xcnt 0x0
	v_cmpx_eq_u32_e32 0, v2
	s_cbranch_execz .LBB2_174
; %bb.173:
	s_bcnt1_i32_b32 s11, s11
	s_delay_alu instid0(SALU_CYCLE_1)
	v_mov_b32_e32 v2, s11
	global_wb scope:SCOPE_SYS
	s_wait_loadcnt 0x0
	s_wait_storecnt 0x0
	global_atomic_add_u64 v[0:1], v[2:3], off offset:8 scope:SCOPE_SYS
.LBB2_174:
	s_wait_xcnt 0x0
	s_or_b32 exec_lo, exec_lo, s10
	s_wait_loadcnt 0x0
	global_load_b64 v[2:3], v[0:1], off offset:16
	s_wait_loadcnt 0x0
	v_cmp_eq_u64_e32 vcc_lo, 0, v[2:3]
	s_cbranch_vccnz .LBB2_176
; %bb.175:
	global_load_b32 v0, v[0:1], off offset:24
	s_wait_xcnt 0x0
	v_mov_b32_e32 v1, 0
	s_wait_loadcnt 0x0
	v_readfirstlane_b32 s10, v0
	global_wb scope:SCOPE_SYS
	s_wait_storecnt 0x0
	global_store_b64 v[2:3], v[0:1], off scope:SCOPE_SYS
	s_and_b32 m0, s10, 0xffffff
	s_sendmsg sendmsg(MSG_INTERRUPT)
.LBB2_176:
	s_wait_xcnt 0x0
	s_or_b32 exec_lo, exec_lo, s3
	s_branch .LBB2_180
.LBB2_177:                              ;   in Loop: Header=BB2_180 Depth=1
	s_wait_xcnt 0x0
	s_or_b32 exec_lo, exec_lo, s3
	s_delay_alu instid0(VALU_DEP_1)
	v_readfirstlane_b32 s3, v0
	s_cmp_eq_u32 s3, 0
	s_cbranch_scc1 .LBB2_179
; %bb.178:                              ;   in Loop: Header=BB2_180 Depth=1
	s_sleep 1
	s_cbranch_execnz .LBB2_180
	s_branch .LBB2_182
.LBB2_179:
	s_branch .LBB2_182
.LBB2_180:                              ; =>This Inner Loop Header: Depth=1
	v_mov_b32_e32 v0, 1
	s_and_saveexec_b32 s3, s2
	s_cbranch_execz .LBB2_177
; %bb.181:                              ;   in Loop: Header=BB2_180 Depth=1
	global_load_b32 v0, v[10:11], off offset:20 scope:SCOPE_SYS
	s_wait_loadcnt 0x0
	global_inv scope:SCOPE_SYS
	v_and_b32_e32 v0, 1, v0
	s_branch .LBB2_177
.LBB2_182:
	s_and_b32 exec_lo, exec_lo, s2
	s_cbranch_execz .LBB2_186
; %bb.183:
	v_mov_b32_e32 v6, 0
	s_clause 0x2
	global_load_b64 v[0:1], v6, s[4:5] offset:40
	global_load_b64 v[10:11], v6, s[4:5] offset:24 scope:SCOPE_SYS
	global_load_b64 v[2:3], v6, s[4:5]
	s_wait_loadcnt 0x2
	v_readfirstlane_b32 s10, v0
	v_readfirstlane_b32 s11, v1
	s_add_nc_u64 s[2:3], s[10:11], 1
	s_delay_alu instid0(SALU_CYCLE_1) | instskip(NEXT) | instid1(SALU_CYCLE_1)
	s_add_nc_u64 s[6:7], s[2:3], s[6:7]
	s_cmp_eq_u64 s[6:7], 0
	s_cselect_b32 s3, s3, s7
	s_cselect_b32 s2, s2, s6
	v_mov_b32_e32 v9, s3
	s_and_b64 s[6:7], s[2:3], s[10:11]
	v_mov_b32_e32 v8, s2
	s_mul_u64 s[6:7], s[6:7], 24
	s_wait_loadcnt 0x0
	v_add_nc_u64_e32 v[4:5], s[6:7], v[2:3]
	global_store_b64 v[4:5], v[10:11], off
	global_wb scope:SCOPE_SYS
	s_wait_storecnt 0x0
	s_wait_xcnt 0x0
	global_atomic_cmpswap_b64 v[2:3], v6, v[8:11], s[4:5] offset:24 th:TH_ATOMIC_RETURN scope:SCOPE_SYS
	s_wait_loadcnt 0x0
	v_cmp_ne_u64_e32 vcc_lo, v[2:3], v[10:11]
	s_and_b32 exec_lo, exec_lo, vcc_lo
	s_cbranch_execz .LBB2_186
; %bb.184:
	s_mov_b32 s6, 0
.LBB2_185:                              ; =>This Inner Loop Header: Depth=1
	v_dual_mov_b32 v0, s2 :: v_dual_mov_b32 v1, s3
	s_sleep 1
	global_store_b64 v[4:5], v[2:3], off
	global_wb scope:SCOPE_SYS
	s_wait_storecnt 0x0
	s_wait_xcnt 0x0
	global_atomic_cmpswap_b64 v[0:1], v6, v[0:3], s[4:5] offset:24 th:TH_ATOMIC_RETURN scope:SCOPE_SYS
	s_wait_loadcnt 0x0
	v_cmp_eq_u64_e32 vcc_lo, v[0:1], v[2:3]
	v_mov_b64_e32 v[2:3], v[0:1]
	s_or_b32 s6, vcc_lo, s6
	s_delay_alu instid0(SALU_CYCLE_1)
	s_and_not1_b32 exec_lo, exec_lo, s6
	s_cbranch_execnz .LBB2_185
.LBB2_186:
	s_or_b32 exec_lo, exec_lo, s18
	s_load_b96 s[4:6], s[0:1], 0x0
	v_and_b32_e32 v3, 7, v36
	s_wait_loadcnt 0x0
	s_wait_storecnt 0x0
	s_barrier_signal -1
	s_barrier_wait -1
	s_wait_kmcnt 0x0
	s_cmp_lt_i32 s6, 1
	s_cbranch_scc1 .LBB2_196
; %bb.187:
	s_cmp_lt_i32 s6, 2
	s_cbranch_scc1 .LBB2_197
; %bb.188:
	s_cmp_eq_u32 s6, 2
                                        ; implicit-def: $vgpr2
	s_cbranch_scc0 .LBB2_392
; %bb.189:
	v_mbcnt_lo_u32_b32 v2, -1, 0
	s_mov_b32 s0, exec_lo
	s_delay_alu instid0(VALU_DEP_1) | instskip(SKIP_1) | instid1(VALU_DEP_2)
	v_dual_mov_b32 v0, 0 :: v_dual_lshlrev_b32 v1, 20, v2
	v_dual_add_nc_u32 v6, -1, v2 :: v_dual_bitop2_b32 v4, 24, v2 bitop3:0x40
	v_add_nc_u64_e32 v[0:1], src_flat_scratch_base_lo, v[0:1]
	s_delay_alu instid0(VALU_DEP_2)
	v_cmp_lt_i32_e32 vcc_lo, v6, v4
	v_cndmask_b32_e32 v6, v6, v2, vcc_lo
	flat_store_b32 v[0:1], v3 scope:SCOPE_SYS
	s_wait_storecnt 0x0
	flat_load_b32 v5, v[0:1] scope:SCOPE_SYS
	s_wait_loadcnt 0x0
	v_lshlrev_b32_e32 v6, 2, v6
	s_wait_dscnt 0x0
	ds_bpermute_b32 v5, v6, v5
	s_wait_xcnt 0x0
	v_cmpx_ne_u32_e32 0, v3
	s_cbranch_execz .LBB2_191
; %bb.190:
	flat_load_b32 v6, v[0:1] scope:SCOPE_SYS
	s_wait_loadcnt_dscnt 0x0
	v_add_nc_u32_e32 v5, v6, v5
	flat_store_b32 v[0:1], v5 scope:SCOPE_SYS
	s_wait_storecnt 0x0
.LBB2_191:
	s_wait_xcnt 0x0
	s_or_b32 exec_lo, exec_lo, s0
	s_wait_dscnt 0x0
	flat_load_b32 v5, v[0:1] scope:SCOPE_SYS
	s_wait_loadcnt 0x0
	v_add_nc_u32_e32 v6, -2, v2
	s_mov_b32 s0, exec_lo
	s_delay_alu instid0(VALU_DEP_1) | instskip(SKIP_1) | instid1(VALU_DEP_1)
	v_cmp_lt_i32_e32 vcc_lo, v6, v4
	v_cndmask_b32_e32 v6, v6, v2, vcc_lo
	v_lshlrev_b32_e32 v6, 2, v6
	s_wait_dscnt 0x0
	ds_bpermute_b32 v5, v6, v5
	s_wait_xcnt 0x0
	v_cmpx_lt_u32_e32 1, v3
	s_cbranch_execz .LBB2_193
; %bb.192:
	flat_load_b32 v6, v[0:1] scope:SCOPE_SYS
	s_wait_loadcnt_dscnt 0x0
	v_add_nc_u32_e32 v5, v6, v5
	flat_store_b32 v[0:1], v5 scope:SCOPE_SYS
	s_wait_storecnt 0x0
.LBB2_193:
	s_wait_xcnt 0x0
	s_or_b32 exec_lo, exec_lo, s0
	s_wait_dscnt 0x0
	flat_load_b32 v5, v[0:1] scope:SCOPE_SYS
	s_wait_loadcnt 0x0
	v_add_nc_u32_e32 v6, -4, v2
	s_mov_b32 s0, exec_lo
	s_delay_alu instid0(VALU_DEP_1) | instskip(SKIP_1) | instid1(VALU_DEP_1)
	v_cmp_lt_i32_e32 vcc_lo, v6, v4
	v_cndmask_b32_e32 v2, v6, v2, vcc_lo
	v_lshlrev_b32_e32 v2, 2, v2
	s_wait_dscnt 0x0
	ds_bpermute_b32 v2, v2, v5
	s_wait_xcnt 0x0
	v_cmpx_lt_u32_e32 3, v3
	s_cbranch_execz .LBB2_195
; %bb.194:
	flat_load_b32 v4, v[0:1] scope:SCOPE_SYS
	s_wait_loadcnt_dscnt 0x0
	v_add_nc_u32_e32 v2, v4, v2
	flat_store_b32 v[0:1], v2 scope:SCOPE_SYS
	s_wait_storecnt 0x0
.LBB2_195:
	s_wait_xcnt 0x0
	s_or_b32 exec_lo, exec_lo, s0
	s_wait_dscnt 0x0
	flat_load_b32 v2, v[0:1] scope:SCOPE_SYS
	s_wait_loadcnt 0x0
	s_wait_dscnt 0x0
	global_store_b32 v36, v2, s[4:5] scale_offset
	s_cbranch_execz .LBB2_198
	s_branch .LBB2_199
.LBB2_196:
                                        ; implicit-def: $vgpr2
	s_branch .LBB2_200
.LBB2_197:
                                        ; implicit-def: $vgpr2
.LBB2_198:
	s_wait_xcnt 0x1
	v_mbcnt_lo_u32_b32 v0, -1, 0
	s_wait_xcnt 0x0
	s_delay_alu instid0(VALU_DEP_1) | instskip(SKIP_1) | instid1(VALU_DEP_1)
	v_xor_b32_e32 v2, 4, v0
	v_and_b32_e32 v1, 24, v0
	v_dual_add_nc_u32 v1, 8, v1 :: v_dual_bitop2_b32 v4, 2, v0 bitop3:0x14
	s_delay_alu instid0(VALU_DEP_1) | instskip(SKIP_1) | instid1(VALU_DEP_3)
	v_cmp_lt_i32_e32 vcc_lo, v2, v1
	v_cndmask_b32_e32 v2, v0, v2, vcc_lo
	v_cmp_lt_i32_e32 vcc_lo, v4, v1
	s_delay_alu instid0(VALU_DEP_2) | instskip(SKIP_4) | instid1(VALU_DEP_1)
	v_lshlrev_b32_e32 v2, 2, v2
	ds_bpermute_b32 v2, v2, v3
	s_wait_dscnt 0x0
	v_dual_cndmask_b32 v4, v0, v4, vcc_lo :: v_dual_add_nc_u32 v2, v2, v3
	v_xor_b32_e32 v5, 1, v0
	v_cmp_lt_i32_e32 vcc_lo, v5, v1
	s_delay_alu instid0(VALU_DEP_3)
	v_dual_lshlrev_b32 v4, 2, v4 :: v_dual_cndmask_b32 v0, v0, v5, vcc_lo
	ds_bpermute_b32 v4, v4, v2
	v_cmp_eq_u32_e32 vcc_lo, 0, v3
	s_wait_dscnt 0x0
	v_dual_lshlrev_b32 v0, 2, v0 :: v_dual_add_nc_u32 v1, v4, v2
	ds_bpermute_b32 v0, v0, v1
	s_wait_dscnt 0x0
	v_add_nc_u32_e32 v0, v0, v1
	s_delay_alu instid0(VALU_DEP_1)
	v_cndmask_b32_e32 v2, -1, v0, vcc_lo
.LBB2_199:
	s_cbranch_execnz .LBB2_204
.LBB2_200:
	s_cmp_lg_u32 s6, 0
                                        ; implicit-def: $vgpr2
	s_cbranch_scc1 .LBB2_204
; %bb.201:
	s_wait_xcnt 0x0
	v_mbcnt_lo_u32_b32 v2, -1, 0
	s_mov_b32 s0, exec_lo
	s_delay_alu instid0(VALU_DEP_1) | instskip(SKIP_1) | instid1(VALU_DEP_2)
	v_dual_mov_b32 v0, 4 :: v_dual_lshlrev_b32 v1, 20, v2
	v_lshl_or_b32 v6, v2, 2, 16
	v_add_nc_u64_e32 v[0:1], src_flat_scratch_base_lo, v[0:1]
	flat_store_b32 v[0:1], v3 scope:SCOPE_SYS
	s_wait_storecnt 0x0
	flat_load_b32 v4, v[0:1] scope:SCOPE_SYS
	s_wait_loadcnt 0x0
	flat_load_b32 v5, v[0:1] scope:SCOPE_SYS
	s_wait_loadcnt_dscnt 0x1
	ds_bpermute_b32 v4, v6, v4
	v_and_b32_e32 v6, 7, v2
	s_delay_alu instid0(VALU_DEP_1) | instskip(SKIP_2) | instid1(VALU_DEP_2)
	v_cmp_gt_u32_e32 vcc_lo, 6, v6
	v_cndmask_b32_e64 v7, 0, 2, vcc_lo
	v_cmp_ne_u32_e32 vcc_lo, 7, v6
	v_add_lshl_u32 v7, v7, v2, 2
	v_add_co_ci_u32_e64 v2, null, 0, v2, vcc_lo
	s_wait_dscnt 0x0
	s_delay_alu instid0(VALU_DEP_1)
	v_dual_add_nc_u32 v4, v5, v4 :: v_dual_lshlrev_b32 v2, 2, v2
	flat_store_b32 v[0:1], v4 scope:SCOPE_SYS
	s_wait_storecnt 0x0
	flat_load_b32 v4, v[0:1] scope:SCOPE_SYS
	s_wait_loadcnt 0x0
	flat_load_b32 v5, v[0:1] scope:SCOPE_SYS
	s_wait_loadcnt_dscnt 0x1
	ds_bpermute_b32 v4, v7, v4
	s_wait_dscnt 0x0
	v_add_nc_u32_e32 v4, v5, v4
	flat_store_b32 v[0:1], v4 scope:SCOPE_SYS
	s_wait_storecnt 0x0
	flat_load_b32 v4, v[0:1] scope:SCOPE_SYS
	s_wait_loadcnt 0x0
	flat_load_b32 v5, v[0:1] scope:SCOPE_SYS
	s_wait_loadcnt_dscnt 0x1
	ds_bpermute_b32 v4, v2, v4
	s_wait_dscnt 0x0
	v_dual_mov_b32 v2, -1 :: v_dual_add_nc_u32 v4, v5, v4
	flat_store_b32 v[0:1], v4 scope:SCOPE_SYS
	s_wait_storecnt 0x0
	s_wait_xcnt 0x0
	v_cmpx_eq_u32_e32 0, v3
	s_cbranch_execz .LBB2_203
; %bb.202:
	flat_load_b32 v2, v[0:1] scope:SCOPE_SYS
	s_wait_loadcnt 0x0
.LBB2_203:
	s_wait_xcnt 0x0
	s_or_b32 exec_lo, exec_lo, s0
.LBB2_204:
	v_cmp_eq_u32_e32 vcc_lo, 0, v3
	s_cmp_lg_u32 s6, 2
	s_cselect_b32 s0, -1, 0
	s_delay_alu instid0(SALU_CYCLE_1)
	s_and_b32 s0, s0, vcc_lo
	s_wait_xcnt 0x0
	s_and_saveexec_b32 s1, s0
	s_cbranch_execz .LBB2_391
; %bb.205:
	s_load_b64 s[2:3], s[8:9], 0x50
	v_mbcnt_lo_u32_b32 v3, -1, 0
	v_mov_b64_e32 v[0:1], 0
	s_delay_alu instid0(VALU_DEP_2) | instskip(NEXT) | instid1(VALU_DEP_1)
	v_readfirstlane_b32 s0, v3
	v_cmp_eq_u32_e64 s0, s0, v3
	s_and_saveexec_b32 s1, s0
	s_cbranch_execz .LBB2_211
; %bb.206:
	v_mov_b32_e32 v4, 0
	s_mov_b32 s6, exec_lo
	s_wait_kmcnt 0x0
	global_load_b64 v[8:9], v4, s[2:3] offset:24 scope:SCOPE_SYS
	s_wait_loadcnt 0x0
	global_inv scope:SCOPE_SYS
	s_clause 0x1
	global_load_b64 v[0:1], v4, s[2:3] offset:40
	global_load_b64 v[6:7], v4, s[2:3]
	s_wait_loadcnt 0x1
	v_and_b32_e32 v0, v0, v8
	v_and_b32_e32 v1, v1, v9
	s_delay_alu instid0(VALU_DEP_1) | instskip(SKIP_1) | instid1(VALU_DEP_1)
	v_mul_u64_e32 v[0:1], 24, v[0:1]
	s_wait_loadcnt 0x0
	v_add_nc_u64_e32 v[0:1], v[6:7], v[0:1]
	global_load_b64 v[6:7], v[0:1], off scope:SCOPE_SYS
	s_wait_xcnt 0x0
	s_wait_loadcnt 0x0
	global_atomic_cmpswap_b64 v[0:1], v4, v[6:9], s[2:3] offset:24 th:TH_ATOMIC_RETURN scope:SCOPE_SYS
	s_wait_loadcnt 0x0
	global_inv scope:SCOPE_SYS
	s_wait_xcnt 0x0
	v_cmpx_ne_u64_e64 v[0:1], v[8:9]
	s_cbranch_execz .LBB2_210
; %bb.207:
	s_mov_b32 s7, 0
.LBB2_208:                              ; =>This Inner Loop Header: Depth=1
	s_sleep 1
	s_clause 0x1
	global_load_b64 v[6:7], v4, s[2:3] offset:40
	global_load_b64 v[10:11], v4, s[2:3]
	v_mov_b64_e32 v[8:9], v[0:1]
	s_wait_loadcnt 0x1
	s_delay_alu instid0(VALU_DEP_1) | instskip(NEXT) | instid1(VALU_DEP_2)
	v_and_b32_e32 v0, v6, v8
	v_and_b32_e32 v5, v7, v9
	s_wait_loadcnt 0x0
	s_delay_alu instid0(VALU_DEP_2) | instskip(NEXT) | instid1(VALU_DEP_1)
	v_mad_nc_u64_u32 v[0:1], v0, 24, v[10:11]
	v_mad_u32 v1, v5, 24, v1
	global_load_b64 v[6:7], v[0:1], off scope:SCOPE_SYS
	s_wait_xcnt 0x0
	s_wait_loadcnt 0x0
	global_atomic_cmpswap_b64 v[0:1], v4, v[6:9], s[2:3] offset:24 th:TH_ATOMIC_RETURN scope:SCOPE_SYS
	s_wait_loadcnt 0x0
	global_inv scope:SCOPE_SYS
	v_cmp_eq_u64_e32 vcc_lo, v[0:1], v[8:9]
	s_or_b32 s7, vcc_lo, s7
	s_wait_xcnt 0x0
	s_and_not1_b32 exec_lo, exec_lo, s7
	s_cbranch_execnz .LBB2_208
; %bb.209:
	s_or_b32 exec_lo, exec_lo, s7
.LBB2_210:
	s_delay_alu instid0(SALU_CYCLE_1)
	s_or_b32 exec_lo, exec_lo, s6
.LBB2_211:
	s_delay_alu instid0(SALU_CYCLE_1)
	s_or_b32 exec_lo, exec_lo, s1
	v_readfirstlane_b32 s6, v0
	v_mov_b32_e32 v5, 0
	v_readfirstlane_b32 s7, v1
	s_mov_b32 s1, exec_lo
	s_wait_kmcnt 0x0
	s_clause 0x1
	global_load_b64 v[6:7], v5, s[2:3] offset:40
	global_load_b128 v[8:11], v5, s[2:3]
	s_wait_loadcnt 0x1
	v_and_b32_e32 v12, s6, v6
	v_and_b32_e32 v13, s7, v7
	s_delay_alu instid0(VALU_DEP_1) | instskip(SKIP_1) | instid1(VALU_DEP_1)
	v_mul_u64_e32 v[0:1], 24, v[12:13]
	s_wait_loadcnt 0x0
	v_add_nc_u64_e32 v[0:1], v[8:9], v[0:1]
	s_wait_xcnt 0x0
	s_and_saveexec_b32 s8, s0
	s_cbranch_execz .LBB2_213
; %bb.212:
	v_mov_b64_e32 v[6:7], 0x100000002
	v_mov_b32_e32 v4, s1
	global_store_b128 v[0:1], v[4:7], off offset:8
.LBB2_213:
	s_wait_xcnt 0x0
	s_or_b32 exec_lo, exec_lo, s8
	v_lshlrev_b64_e32 v[6:7], 12, v[12:13]
	s_mov_b32 s8, 0
	v_dual_lshlrev_b32 v4, 6, v3 :: v_dual_mov_b32 v12, 33
	s_mov_b32 s10, s8
	s_mov_b32 s11, s8
	;; [unrolled: 1-line block ×3, first 2 shown]
	s_delay_alu instid0(VALU_DEP_2)
	v_add_nc_u64_e32 v[10:11], v[10:11], v[6:7]
	v_mov_b64_e32 v[18:19], s[10:11]
	v_mov_b64_e32 v[16:17], s[8:9]
	v_dual_mov_b32 v13, v5 :: v_dual_mov_b32 v14, v5
	v_mov_b32_e32 v15, v5
	v_readfirstlane_b32 s12, v10
	v_readfirstlane_b32 s13, v11
	s_clause 0x3
	global_store_b128 v4, v[12:15], s[12:13]
	global_store_b128 v4, v[16:19], s[12:13] offset:16
	global_store_b128 v4, v[16:19], s[12:13] offset:32
	;; [unrolled: 1-line block ×3, first 2 shown]
	s_wait_xcnt 0x0
	s_and_saveexec_b32 s1, s0
	s_cbranch_execz .LBB2_221
; %bb.214:
	v_dual_mov_b32 v14, 0 :: v_dual_mov_b32 v17, s7
	s_mov_b32 s8, exec_lo
	s_clause 0x1
	global_load_b64 v[18:19], v14, s[2:3] offset:32 scope:SCOPE_SYS
	global_load_b64 v[6:7], v14, s[2:3] offset:40
	s_wait_loadcnt 0x0
	v_dual_mov_b32 v16, s6 :: v_dual_bitop2_b32 v7, s7, v7 bitop3:0x40
	v_and_b32_e32 v6, s6, v6
	s_delay_alu instid0(VALU_DEP_1) | instskip(NEXT) | instid1(VALU_DEP_1)
	v_mul_u64_e32 v[6:7], 24, v[6:7]
	v_add_nc_u64_e32 v[12:13], v[8:9], v[6:7]
	global_store_b64 v[12:13], v[18:19], off
	global_wb scope:SCOPE_SYS
	s_wait_storecnt 0x0
	s_wait_xcnt 0x0
	global_atomic_cmpswap_b64 v[8:9], v14, v[16:19], s[2:3] offset:32 th:TH_ATOMIC_RETURN scope:SCOPE_SYS
	s_wait_loadcnt 0x0
	v_cmpx_ne_u64_e64 v[8:9], v[18:19]
	s_cbranch_execz .LBB2_217
; %bb.215:
	s_mov_b32 s9, 0
.LBB2_216:                              ; =>This Inner Loop Header: Depth=1
	v_dual_mov_b32 v6, s6 :: v_dual_mov_b32 v7, s7
	s_sleep 1
	global_store_b64 v[12:13], v[8:9], off
	global_wb scope:SCOPE_SYS
	s_wait_storecnt 0x0
	s_wait_xcnt 0x0
	global_atomic_cmpswap_b64 v[6:7], v14, v[6:9], s[2:3] offset:32 th:TH_ATOMIC_RETURN scope:SCOPE_SYS
	s_wait_loadcnt 0x0
	v_cmp_eq_u64_e32 vcc_lo, v[6:7], v[8:9]
	v_mov_b64_e32 v[8:9], v[6:7]
	s_or_b32 s9, vcc_lo, s9
	s_delay_alu instid0(SALU_CYCLE_1)
	s_and_not1_b32 exec_lo, exec_lo, s9
	s_cbranch_execnz .LBB2_216
.LBB2_217:
	s_or_b32 exec_lo, exec_lo, s8
	v_mov_b32_e32 v9, 0
	s_mov_b32 s9, exec_lo
	s_mov_b32 s8, exec_lo
	v_mbcnt_lo_u32_b32 v8, s9, 0
	global_load_b64 v[6:7], v9, s[2:3] offset:16
	s_wait_xcnt 0x0
	v_cmpx_eq_u32_e32 0, v8
	s_cbranch_execz .LBB2_219
; %bb.218:
	s_bcnt1_i32_b32 s9, s9
	s_delay_alu instid0(SALU_CYCLE_1)
	v_mov_b32_e32 v8, s9
	global_wb scope:SCOPE_SYS
	s_wait_loadcnt 0x0
	s_wait_storecnt 0x0
	global_atomic_add_u64 v[6:7], v[8:9], off offset:8 scope:SCOPE_SYS
.LBB2_219:
	s_wait_xcnt 0x0
	s_or_b32 exec_lo, exec_lo, s8
	s_wait_loadcnt 0x0
	global_load_b64 v[8:9], v[6:7], off offset:16
	s_wait_loadcnt 0x0
	v_cmp_eq_u64_e32 vcc_lo, 0, v[8:9]
	s_cbranch_vccnz .LBB2_221
; %bb.220:
	global_load_b32 v6, v[6:7], off offset:24
	s_wait_xcnt 0x0
	v_mov_b32_e32 v7, 0
	s_wait_loadcnt 0x0
	v_readfirstlane_b32 s8, v6
	global_wb scope:SCOPE_SYS
	s_wait_storecnt 0x0
	global_store_b64 v[8:9], v[6:7], off scope:SCOPE_SYS
	s_and_b32 m0, s8, 0xffffff
	s_sendmsg sendmsg(MSG_INTERRUPT)
.LBB2_221:
	s_wait_xcnt 0x0
	s_or_b32 exec_lo, exec_lo, s1
	v_add_nc_u64_e32 v[6:7], v[10:11], v[4:5]
	s_branch .LBB2_225
.LBB2_222:                              ;   in Loop: Header=BB2_225 Depth=1
	s_wait_xcnt 0x0
	s_or_b32 exec_lo, exec_lo, s1
	s_delay_alu instid0(VALU_DEP_1)
	v_readfirstlane_b32 s1, v5
	s_cmp_eq_u32 s1, 0
	s_cbranch_scc1 .LBB2_224
; %bb.223:                              ;   in Loop: Header=BB2_225 Depth=1
	s_sleep 1
	s_cbranch_execnz .LBB2_225
	s_branch .LBB2_227
.LBB2_224:
	s_branch .LBB2_227
.LBB2_225:                              ; =>This Inner Loop Header: Depth=1
	v_mov_b32_e32 v5, 1
	s_and_saveexec_b32 s1, s0
	s_cbranch_execz .LBB2_222
; %bb.226:                              ;   in Loop: Header=BB2_225 Depth=1
	global_load_b32 v5, v[0:1], off offset:20 scope:SCOPE_SYS
	s_wait_loadcnt 0x0
	global_inv scope:SCOPE_SYS
	v_and_b32_e32 v5, 1, v5
	s_branch .LBB2_222
.LBB2_227:
	global_load_b64 v[6:7], v[6:7], off
	s_wait_xcnt 0x0
	s_and_saveexec_b32 s8, s0
	s_cbranch_execz .LBB2_231
; %bb.228:
	v_mov_b32_e32 v5, 0
	s_clause 0x2
	global_load_b64 v[0:1], v5, s[2:3] offset:40
	global_load_b64 v[12:13], v5, s[2:3] offset:24 scope:SCOPE_SYS
	global_load_b64 v[8:9], v5, s[2:3]
	s_wait_loadcnt 0x2
	v_readfirstlane_b32 s10, v0
	v_readfirstlane_b32 s11, v1
	s_add_nc_u64 s[0:1], s[10:11], 1
	s_delay_alu instid0(SALU_CYCLE_1) | instskip(NEXT) | instid1(SALU_CYCLE_1)
	s_add_nc_u64 s[6:7], s[0:1], s[6:7]
	s_cmp_eq_u64 s[6:7], 0
	s_cselect_b32 s1, s1, s7
	s_cselect_b32 s0, s0, s6
	v_mov_b32_e32 v11, s1
	s_and_b64 s[6:7], s[0:1], s[10:11]
	v_mov_b32_e32 v10, s0
	s_mul_u64 s[6:7], s[6:7], 24
	s_wait_loadcnt 0x0
	v_add_nc_u64_e32 v[0:1], s[6:7], v[8:9]
	global_store_b64 v[0:1], v[12:13], off
	global_wb scope:SCOPE_SYS
	s_wait_storecnt 0x0
	s_wait_xcnt 0x0
	global_atomic_cmpswap_b64 v[10:11], v5, v[10:13], s[2:3] offset:24 th:TH_ATOMIC_RETURN scope:SCOPE_SYS
	s_wait_loadcnt 0x0
	v_cmp_ne_u64_e32 vcc_lo, v[10:11], v[12:13]
	s_and_b32 exec_lo, exec_lo, vcc_lo
	s_cbranch_execz .LBB2_231
; %bb.229:
	s_mov_b32 s6, 0
.LBB2_230:                              ; =>This Inner Loop Header: Depth=1
	v_dual_mov_b32 v8, s0 :: v_dual_mov_b32 v9, s1
	s_sleep 1
	global_store_b64 v[0:1], v[10:11], off
	global_wb scope:SCOPE_SYS
	s_wait_storecnt 0x0
	s_wait_xcnt 0x0
	global_atomic_cmpswap_b64 v[8:9], v5, v[8:11], s[2:3] offset:24 th:TH_ATOMIC_RETURN scope:SCOPE_SYS
	s_wait_loadcnt 0x0
	v_cmp_eq_u64_e32 vcc_lo, v[8:9], v[10:11]
	v_mov_b64_e32 v[10:11], v[8:9]
	s_or_b32 s6, vcc_lo, s6
	s_delay_alu instid0(SALU_CYCLE_1)
	s_and_not1_b32 exec_lo, exec_lo, s6
	s_cbranch_execnz .LBB2_230
.LBB2_231:
	s_or_b32 exec_lo, exec_lo, s8
	s_get_pc_i64 s[6:7]
	s_add_nc_u64 s[6:7], s[6:7], .str.1@rel64+4
	s_delay_alu instid0(SALU_CYCLE_1)
	s_cmp_lg_u64 s[6:7], 0
	s_cbranch_scc0 .LBB2_310
; %bb.232:
	v_mov_b64_e32 v[14:15], 0x100000002
	s_wait_loadcnt 0x0
	v_dual_mov_b32 v13, 0 :: v_dual_bitop2_b32 v0, 2, v6 bitop3:0x40
	v_dual_mov_b32 v9, v7 :: v_dual_bitop2_b32 v8, -3, v6 bitop3:0x40
	s_mov_b64 s[8:9], 58
	s_branch .LBB2_234
.LBB2_233:                              ;   in Loop: Header=BB2_234 Depth=1
	s_or_b32 exec_lo, exec_lo, s14
	s_sub_nc_u64 s[8:9], s[8:9], s[10:11]
	s_add_nc_u64 s[6:7], s[6:7], s[10:11]
	s_cmp_lg_u64 s[8:9], 0
	s_cbranch_scc0 .LBB2_309
.LBB2_234:                              ; =>This Loop Header: Depth=1
                                        ;     Child Loop BB2_237 Depth 2
                                        ;     Child Loop BB2_244 Depth 2
	;; [unrolled: 1-line block ×11, first 2 shown]
	v_min_u64 v[10:11], s[8:9], 56
	v_cmp_gt_u64_e64 s0, s[8:9], 7
	s_and_b32 vcc_lo, exec_lo, s0
	v_readfirstlane_b32 s10, v10
	v_readfirstlane_b32 s11, v11
	s_cbranch_vccnz .LBB2_239
; %bb.235:                              ;   in Loop: Header=BB2_234 Depth=1
	v_mov_b64_e32 v[10:11], 0
	s_cmp_eq_u64 s[8:9], 0
	s_cbranch_scc1 .LBB2_238
; %bb.236:                              ;   in Loop: Header=BB2_234 Depth=1
	s_mov_b64 s[0:1], 0
	s_mov_b64 s[12:13], 0
.LBB2_237:                              ;   Parent Loop BB2_234 Depth=1
                                        ; =>  This Inner Loop Header: Depth=2
	s_wait_xcnt 0x0
	s_add_nc_u64 s[14:15], s[6:7], s[12:13]
	s_add_nc_u64 s[12:13], s[12:13], 1
	global_load_u8 v1, v13, s[14:15]
	s_cmp_lg_u32 s10, s12
	s_wait_loadcnt 0x0
	v_and_b32_e32 v12, 0xffff, v1
	s_delay_alu instid0(VALU_DEP_1) | instskip(SKIP_1) | instid1(VALU_DEP_1)
	v_lshlrev_b64_e32 v[16:17], s0, v[12:13]
	s_add_nc_u64 s[0:1], s[0:1], 8
	v_or_b32_e32 v10, v16, v10
	s_delay_alu instid0(VALU_DEP_2)
	v_or_b32_e32 v11, v17, v11
	s_cbranch_scc1 .LBB2_237
.LBB2_238:                              ;   in Loop: Header=BB2_234 Depth=1
	s_mov_b64 s[12:13], s[6:7]
	s_mov_b32 s16, 0
	s_cbranch_execz .LBB2_240
	s_branch .LBB2_241
.LBB2_239:                              ;   in Loop: Header=BB2_234 Depth=1
	s_add_nc_u64 s[12:13], s[6:7], 8
	s_mov_b32 s16, 0
.LBB2_240:                              ;   in Loop: Header=BB2_234 Depth=1
	global_load_b64 v[10:11], v13, s[6:7]
	s_add_co_i32 s16, s10, -8
.LBB2_241:                              ;   in Loop: Header=BB2_234 Depth=1
	s_delay_alu instid0(SALU_CYCLE_1)
	s_cmp_gt_u32 s16, 7
	s_cbranch_scc1 .LBB2_246
; %bb.242:                              ;   in Loop: Header=BB2_234 Depth=1
	v_mov_b64_e32 v[16:17], 0
	s_cmp_eq_u32 s16, 0
	s_cbranch_scc1 .LBB2_245
; %bb.243:                              ;   in Loop: Header=BB2_234 Depth=1
	s_mov_b64 s[0:1], 0
	s_wait_xcnt 0x0
	s_mov_b64 s[14:15], 0
.LBB2_244:                              ;   Parent Loop BB2_234 Depth=1
                                        ; =>  This Inner Loop Header: Depth=2
	s_wait_xcnt 0x0
	s_add_nc_u64 s[18:19], s[12:13], s[14:15]
	s_add_nc_u64 s[14:15], s[14:15], 1
	global_load_u8 v1, v13, s[18:19]
	s_cmp_lg_u32 s16, s14
	s_wait_loadcnt 0x0
	v_and_b32_e32 v12, 0xffff, v1
	s_delay_alu instid0(VALU_DEP_1) | instskip(SKIP_1) | instid1(VALU_DEP_1)
	v_lshlrev_b64_e32 v[18:19], s0, v[12:13]
	s_add_nc_u64 s[0:1], s[0:1], 8
	v_or_b32_e32 v16, v18, v16
	s_delay_alu instid0(VALU_DEP_2)
	v_or_b32_e32 v17, v19, v17
	s_cbranch_scc1 .LBB2_244
.LBB2_245:                              ;   in Loop: Header=BB2_234 Depth=1
	s_wait_xcnt 0x0
	s_mov_b64 s[0:1], s[12:13]
	s_mov_b32 s17, 0
	s_cbranch_execz .LBB2_247
	s_branch .LBB2_248
.LBB2_246:                              ;   in Loop: Header=BB2_234 Depth=1
	s_add_nc_u64 s[0:1], s[12:13], 8
	s_wait_xcnt 0x0
                                        ; implicit-def: $vgpr16_vgpr17
	s_mov_b32 s17, 0
.LBB2_247:                              ;   in Loop: Header=BB2_234 Depth=1
	global_load_b64 v[16:17], v13, s[12:13]
	s_add_co_i32 s17, s16, -8
.LBB2_248:                              ;   in Loop: Header=BB2_234 Depth=1
	s_delay_alu instid0(SALU_CYCLE_1)
	s_cmp_gt_u32 s17, 7
	s_cbranch_scc1 .LBB2_253
; %bb.249:                              ;   in Loop: Header=BB2_234 Depth=1
	v_mov_b64_e32 v[18:19], 0
	s_cmp_eq_u32 s17, 0
	s_cbranch_scc1 .LBB2_252
; %bb.250:                              ;   in Loop: Header=BB2_234 Depth=1
	s_wait_xcnt 0x0
	s_mov_b64 s[12:13], 0
	s_mov_b64 s[14:15], 0
.LBB2_251:                              ;   Parent Loop BB2_234 Depth=1
                                        ; =>  This Inner Loop Header: Depth=2
	s_wait_xcnt 0x0
	s_add_nc_u64 s[18:19], s[0:1], s[14:15]
	s_add_nc_u64 s[14:15], s[14:15], 1
	global_load_u8 v1, v13, s[18:19]
	s_cmp_lg_u32 s17, s14
	s_wait_loadcnt 0x0
	v_and_b32_e32 v12, 0xffff, v1
	s_delay_alu instid0(VALU_DEP_1) | instskip(SKIP_1) | instid1(VALU_DEP_1)
	v_lshlrev_b64_e32 v[20:21], s12, v[12:13]
	s_add_nc_u64 s[12:13], s[12:13], 8
	v_or_b32_e32 v18, v20, v18
	s_delay_alu instid0(VALU_DEP_2)
	v_or_b32_e32 v19, v21, v19
	s_cbranch_scc1 .LBB2_251
.LBB2_252:                              ;   in Loop: Header=BB2_234 Depth=1
	s_wait_xcnt 0x0
	s_mov_b64 s[12:13], s[0:1]
	s_mov_b32 s16, 0
	s_cbranch_execz .LBB2_254
	s_branch .LBB2_255
.LBB2_253:                              ;   in Loop: Header=BB2_234 Depth=1
	s_wait_xcnt 0x0
	s_add_nc_u64 s[12:13], s[0:1], 8
	s_mov_b32 s16, 0
.LBB2_254:                              ;   in Loop: Header=BB2_234 Depth=1
	global_load_b64 v[18:19], v13, s[0:1]
	s_add_co_i32 s16, s17, -8
.LBB2_255:                              ;   in Loop: Header=BB2_234 Depth=1
	s_delay_alu instid0(SALU_CYCLE_1)
	s_cmp_gt_u32 s16, 7
	s_cbranch_scc1 .LBB2_260
; %bb.256:                              ;   in Loop: Header=BB2_234 Depth=1
	v_mov_b64_e32 v[20:21], 0
	s_cmp_eq_u32 s16, 0
	s_cbranch_scc1 .LBB2_259
; %bb.257:                              ;   in Loop: Header=BB2_234 Depth=1
	s_wait_xcnt 0x0
	s_mov_b64 s[0:1], 0
	s_mov_b64 s[14:15], 0
.LBB2_258:                              ;   Parent Loop BB2_234 Depth=1
                                        ; =>  This Inner Loop Header: Depth=2
	s_wait_xcnt 0x0
	s_add_nc_u64 s[18:19], s[12:13], s[14:15]
	s_add_nc_u64 s[14:15], s[14:15], 1
	global_load_u8 v1, v13, s[18:19]
	s_cmp_lg_u32 s16, s14
	s_wait_loadcnt 0x0
	v_and_b32_e32 v12, 0xffff, v1
	s_delay_alu instid0(VALU_DEP_1) | instskip(SKIP_1) | instid1(VALU_DEP_1)
	v_lshlrev_b64_e32 v[22:23], s0, v[12:13]
	s_add_nc_u64 s[0:1], s[0:1], 8
	v_or_b32_e32 v20, v22, v20
	s_delay_alu instid0(VALU_DEP_2)
	v_or_b32_e32 v21, v23, v21
	s_cbranch_scc1 .LBB2_258
.LBB2_259:                              ;   in Loop: Header=BB2_234 Depth=1
	s_wait_xcnt 0x0
	s_mov_b64 s[0:1], s[12:13]
	s_mov_b32 s17, 0
	s_cbranch_execz .LBB2_261
	s_branch .LBB2_262
.LBB2_260:                              ;   in Loop: Header=BB2_234 Depth=1
	s_wait_xcnt 0x0
	s_add_nc_u64 s[0:1], s[12:13], 8
                                        ; implicit-def: $vgpr20_vgpr21
	s_mov_b32 s17, 0
.LBB2_261:                              ;   in Loop: Header=BB2_234 Depth=1
	global_load_b64 v[20:21], v13, s[12:13]
	s_add_co_i32 s17, s16, -8
.LBB2_262:                              ;   in Loop: Header=BB2_234 Depth=1
	s_delay_alu instid0(SALU_CYCLE_1)
	s_cmp_gt_u32 s17, 7
	s_cbranch_scc1 .LBB2_267
; %bb.263:                              ;   in Loop: Header=BB2_234 Depth=1
	v_mov_b64_e32 v[22:23], 0
	s_cmp_eq_u32 s17, 0
	s_cbranch_scc1 .LBB2_266
; %bb.264:                              ;   in Loop: Header=BB2_234 Depth=1
	s_wait_xcnt 0x0
	s_mov_b64 s[12:13], 0
	s_mov_b64 s[14:15], 0
.LBB2_265:                              ;   Parent Loop BB2_234 Depth=1
                                        ; =>  This Inner Loop Header: Depth=2
	s_wait_xcnt 0x0
	s_add_nc_u64 s[18:19], s[0:1], s[14:15]
	s_add_nc_u64 s[14:15], s[14:15], 1
	global_load_u8 v1, v13, s[18:19]
	s_cmp_lg_u32 s17, s14
	s_wait_loadcnt 0x0
	v_and_b32_e32 v12, 0xffff, v1
	s_delay_alu instid0(VALU_DEP_1) | instskip(SKIP_1) | instid1(VALU_DEP_1)
	v_lshlrev_b64_e32 v[24:25], s12, v[12:13]
	s_add_nc_u64 s[12:13], s[12:13], 8
	v_or_b32_e32 v22, v24, v22
	s_delay_alu instid0(VALU_DEP_2)
	v_or_b32_e32 v23, v25, v23
	s_cbranch_scc1 .LBB2_265
.LBB2_266:                              ;   in Loop: Header=BB2_234 Depth=1
	s_wait_xcnt 0x0
	s_mov_b64 s[12:13], s[0:1]
	s_mov_b32 s16, 0
	s_cbranch_execz .LBB2_268
	s_branch .LBB2_269
.LBB2_267:                              ;   in Loop: Header=BB2_234 Depth=1
	s_wait_xcnt 0x0
	s_add_nc_u64 s[12:13], s[0:1], 8
	s_mov_b32 s16, 0
.LBB2_268:                              ;   in Loop: Header=BB2_234 Depth=1
	global_load_b64 v[22:23], v13, s[0:1]
	s_add_co_i32 s16, s17, -8
.LBB2_269:                              ;   in Loop: Header=BB2_234 Depth=1
	s_delay_alu instid0(SALU_CYCLE_1)
	s_cmp_gt_u32 s16, 7
	s_cbranch_scc1 .LBB2_274
; %bb.270:                              ;   in Loop: Header=BB2_234 Depth=1
	v_mov_b64_e32 v[24:25], 0
	s_cmp_eq_u32 s16, 0
	s_cbranch_scc1 .LBB2_273
; %bb.271:                              ;   in Loop: Header=BB2_234 Depth=1
	s_wait_xcnt 0x0
	s_mov_b64 s[0:1], 0
	s_mov_b64 s[14:15], 0
.LBB2_272:                              ;   Parent Loop BB2_234 Depth=1
                                        ; =>  This Inner Loop Header: Depth=2
	s_wait_xcnt 0x0
	s_add_nc_u64 s[18:19], s[12:13], s[14:15]
	s_add_nc_u64 s[14:15], s[14:15], 1
	global_load_u8 v1, v13, s[18:19]
	s_cmp_lg_u32 s16, s14
	s_wait_loadcnt 0x0
	v_and_b32_e32 v12, 0xffff, v1
	s_delay_alu instid0(VALU_DEP_1) | instskip(SKIP_1) | instid1(VALU_DEP_1)
	v_lshlrev_b64_e32 v[26:27], s0, v[12:13]
	s_add_nc_u64 s[0:1], s[0:1], 8
	v_or_b32_e32 v24, v26, v24
	s_delay_alu instid0(VALU_DEP_2)
	v_or_b32_e32 v25, v27, v25
	s_cbranch_scc1 .LBB2_272
.LBB2_273:                              ;   in Loop: Header=BB2_234 Depth=1
	s_wait_xcnt 0x0
	s_mov_b64 s[0:1], s[12:13]
	s_mov_b32 s17, 0
	s_cbranch_execz .LBB2_275
	s_branch .LBB2_276
.LBB2_274:                              ;   in Loop: Header=BB2_234 Depth=1
	s_wait_xcnt 0x0
	s_add_nc_u64 s[0:1], s[12:13], 8
                                        ; implicit-def: $vgpr24_vgpr25
	s_mov_b32 s17, 0
.LBB2_275:                              ;   in Loop: Header=BB2_234 Depth=1
	global_load_b64 v[24:25], v13, s[12:13]
	s_add_co_i32 s17, s16, -8
.LBB2_276:                              ;   in Loop: Header=BB2_234 Depth=1
	s_delay_alu instid0(SALU_CYCLE_1)
	s_cmp_gt_u32 s17, 7
	s_cbranch_scc1 .LBB2_281
; %bb.277:                              ;   in Loop: Header=BB2_234 Depth=1
	v_mov_b64_e32 v[26:27], 0
	s_cmp_eq_u32 s17, 0
	s_cbranch_scc1 .LBB2_280
; %bb.278:                              ;   in Loop: Header=BB2_234 Depth=1
	s_wait_xcnt 0x0
	s_mov_b64 s[12:13], 0
	s_mov_b64 s[14:15], s[0:1]
.LBB2_279:                              ;   Parent Loop BB2_234 Depth=1
                                        ; =>  This Inner Loop Header: Depth=2
	global_load_u8 v1, v13, s[14:15]
	s_add_co_i32 s17, s17, -1
	s_wait_xcnt 0x0
	s_add_nc_u64 s[14:15], s[14:15], 1
	s_cmp_lg_u32 s17, 0
	s_wait_loadcnt 0x0
	v_and_b32_e32 v12, 0xffff, v1
	s_delay_alu instid0(VALU_DEP_1) | instskip(SKIP_1) | instid1(VALU_DEP_1)
	v_lshlrev_b64_e32 v[28:29], s12, v[12:13]
	s_add_nc_u64 s[12:13], s[12:13], 8
	v_or_b32_e32 v26, v28, v26
	s_delay_alu instid0(VALU_DEP_2)
	v_or_b32_e32 v27, v29, v27
	s_cbranch_scc1 .LBB2_279
.LBB2_280:                              ;   in Loop: Header=BB2_234 Depth=1
	s_wait_xcnt 0x0
	s_cbranch_execz .LBB2_282
	s_branch .LBB2_283
.LBB2_281:                              ;   in Loop: Header=BB2_234 Depth=1
	s_wait_xcnt 0x0
.LBB2_282:                              ;   in Loop: Header=BB2_234 Depth=1
	global_load_b64 v[26:27], v13, s[0:1]
.LBB2_283:                              ;   in Loop: Header=BB2_234 Depth=1
	s_wait_xcnt 0x0
	v_readfirstlane_b32 s0, v3
	v_mov_b64_e32 v[32:33], 0
	s_delay_alu instid0(VALU_DEP_2)
	v_cmp_eq_u32_e64 s0, s0, v3
	s_and_saveexec_b32 s1, s0
	s_cbranch_execz .LBB2_289
; %bb.284:                              ;   in Loop: Header=BB2_234 Depth=1
	global_load_b64 v[30:31], v13, s[2:3] offset:24 scope:SCOPE_SYS
	s_wait_loadcnt 0x0
	global_inv scope:SCOPE_SYS
	s_clause 0x1
	global_load_b64 v[28:29], v13, s[2:3] offset:40
	global_load_b64 v[32:33], v13, s[2:3]
	s_mov_b32 s12, exec_lo
	s_wait_loadcnt 0x1
	v_and_b32_e32 v28, v28, v30
	v_and_b32_e32 v29, v29, v31
	s_delay_alu instid0(VALU_DEP_1) | instskip(SKIP_1) | instid1(VALU_DEP_1)
	v_mul_u64_e32 v[28:29], 24, v[28:29]
	s_wait_loadcnt 0x0
	v_add_nc_u64_e32 v[28:29], v[32:33], v[28:29]
	global_load_b64 v[28:29], v[28:29], off scope:SCOPE_SYS
	s_wait_xcnt 0x0
	s_wait_loadcnt 0x0
	global_atomic_cmpswap_b64 v[32:33], v13, v[28:31], s[2:3] offset:24 th:TH_ATOMIC_RETURN scope:SCOPE_SYS
	s_wait_loadcnt 0x0
	global_inv scope:SCOPE_SYS
	s_wait_xcnt 0x0
	v_cmpx_ne_u64_e64 v[32:33], v[30:31]
	s_cbranch_execz .LBB2_288
; %bb.285:                              ;   in Loop: Header=BB2_234 Depth=1
	s_mov_b32 s13, 0
.LBB2_286:                              ;   Parent Loop BB2_234 Depth=1
                                        ; =>  This Inner Loop Header: Depth=2
	s_sleep 1
	s_clause 0x1
	global_load_b64 v[28:29], v13, s[2:3] offset:40
	global_load_b64 v[34:35], v13, s[2:3]
	v_mov_b64_e32 v[30:31], v[32:33]
	s_wait_loadcnt 0x1
	s_delay_alu instid0(VALU_DEP_1) | instskip(SKIP_1) | instid1(VALU_DEP_1)
	v_and_b32_e32 v1, v28, v30
	s_wait_loadcnt 0x0
	v_mad_nc_u64_u32 v[32:33], v1, 24, v[34:35]
	s_delay_alu instid0(VALU_DEP_3) | instskip(NEXT) | instid1(VALU_DEP_1)
	v_and_b32_e32 v1, v29, v31
	v_mad_u32 v33, v1, 24, v33
	global_load_b64 v[28:29], v[32:33], off scope:SCOPE_SYS
	s_wait_xcnt 0x0
	s_wait_loadcnt 0x0
	global_atomic_cmpswap_b64 v[32:33], v13, v[28:31], s[2:3] offset:24 th:TH_ATOMIC_RETURN scope:SCOPE_SYS
	s_wait_loadcnt 0x0
	global_inv scope:SCOPE_SYS
	v_cmp_eq_u64_e32 vcc_lo, v[32:33], v[30:31]
	s_or_b32 s13, vcc_lo, s13
	s_wait_xcnt 0x0
	s_and_not1_b32 exec_lo, exec_lo, s13
	s_cbranch_execnz .LBB2_286
; %bb.287:                              ;   in Loop: Header=BB2_234 Depth=1
	s_or_b32 exec_lo, exec_lo, s13
.LBB2_288:                              ;   in Loop: Header=BB2_234 Depth=1
	s_delay_alu instid0(SALU_CYCLE_1)
	s_or_b32 exec_lo, exec_lo, s12
.LBB2_289:                              ;   in Loop: Header=BB2_234 Depth=1
	s_delay_alu instid0(SALU_CYCLE_1)
	s_or_b32 exec_lo, exec_lo, s1
	s_clause 0x1
	global_load_b64 v[34:35], v13, s[2:3] offset:40
	global_load_b128 v[28:31], v13, s[2:3]
	v_readfirstlane_b32 s12, v32
	v_readfirstlane_b32 s13, v33
	s_mov_b32 s1, exec_lo
	s_wait_loadcnt 0x1
	v_and_b32_e32 v34, s12, v34
	v_and_b32_e32 v35, s13, v35
	s_delay_alu instid0(VALU_DEP_1) | instskip(SKIP_1) | instid1(VALU_DEP_1)
	v_mul_u64_e32 v[32:33], 24, v[34:35]
	s_wait_loadcnt 0x0
	v_add_nc_u64_e32 v[32:33], v[28:29], v[32:33]
	s_wait_xcnt 0x0
	s_and_saveexec_b32 s14, s0
	s_cbranch_execz .LBB2_291
; %bb.290:                              ;   in Loop: Header=BB2_234 Depth=1
	v_mov_b32_e32 v12, s1
	global_store_b128 v[32:33], v[12:15], off offset:8
.LBB2_291:                              ;   in Loop: Header=BB2_234 Depth=1
	s_wait_xcnt 0x0
	s_or_b32 exec_lo, exec_lo, s14
	v_cmp_lt_u64_e64 vcc_lo, s[8:9], 57
	v_lshlrev_b64_e32 v[34:35], 12, v[34:35]
	v_and_b32_e32 v5, 0xffffff1f, v8
	s_lshl_b32 s1, s10, 2
	s_delay_alu instid0(SALU_CYCLE_1) | instskip(SKIP_1) | instid1(VALU_DEP_3)
	s_add_co_i32 s1, s1, 28
	v_cndmask_b32_e32 v1, 0, v0, vcc_lo
	v_add_nc_u64_e32 v[30:31], v[30:31], v[34:35]
	s_delay_alu instid0(VALU_DEP_2) | instskip(NEXT) | instid1(VALU_DEP_2)
	v_or_b32_e32 v1, v5, v1
	v_readfirstlane_b32 s14, v30
	s_delay_alu instid0(VALU_DEP_3) | instskip(NEXT) | instid1(VALU_DEP_3)
	v_readfirstlane_b32 s15, v31
	v_and_or_b32 v8, 0x1e0, s1, v1
	s_clause 0x3
	global_store_b128 v4, v[8:11], s[14:15]
	global_store_b128 v4, v[16:19], s[14:15] offset:16
	global_store_b128 v4, v[20:23], s[14:15] offset:32
	;; [unrolled: 1-line block ×3, first 2 shown]
	s_wait_xcnt 0x0
	s_and_saveexec_b32 s1, s0
	s_cbranch_execz .LBB2_299
; %bb.292:                              ;   in Loop: Header=BB2_234 Depth=1
	s_clause 0x1
	global_load_b64 v[20:21], v13, s[2:3] offset:32 scope:SCOPE_SYS
	global_load_b64 v[8:9], v13, s[2:3] offset:40
	s_mov_b32 s14, exec_lo
	v_dual_mov_b32 v18, s12 :: v_dual_mov_b32 v19, s13
	s_wait_loadcnt 0x0
	v_and_b32_e32 v9, s13, v9
	v_and_b32_e32 v8, s12, v8
	s_delay_alu instid0(VALU_DEP_1) | instskip(NEXT) | instid1(VALU_DEP_1)
	v_mul_u64_e32 v[8:9], 24, v[8:9]
	v_add_nc_u64_e32 v[16:17], v[28:29], v[8:9]
	global_store_b64 v[16:17], v[20:21], off
	global_wb scope:SCOPE_SYS
	s_wait_storecnt 0x0
	s_wait_xcnt 0x0
	global_atomic_cmpswap_b64 v[10:11], v13, v[18:21], s[2:3] offset:32 th:TH_ATOMIC_RETURN scope:SCOPE_SYS
	s_wait_loadcnt 0x0
	v_cmpx_ne_u64_e64 v[10:11], v[20:21]
	s_cbranch_execz .LBB2_295
; %bb.293:                              ;   in Loop: Header=BB2_234 Depth=1
	s_mov_b32 s15, 0
.LBB2_294:                              ;   Parent Loop BB2_234 Depth=1
                                        ; =>  This Inner Loop Header: Depth=2
	v_dual_mov_b32 v8, s12 :: v_dual_mov_b32 v9, s13
	s_sleep 1
	global_store_b64 v[16:17], v[10:11], off
	global_wb scope:SCOPE_SYS
	s_wait_storecnt 0x0
	s_wait_xcnt 0x0
	global_atomic_cmpswap_b64 v[8:9], v13, v[8:11], s[2:3] offset:32 th:TH_ATOMIC_RETURN scope:SCOPE_SYS
	s_wait_loadcnt 0x0
	v_cmp_eq_u64_e32 vcc_lo, v[8:9], v[10:11]
	v_mov_b64_e32 v[10:11], v[8:9]
	s_or_b32 s15, vcc_lo, s15
	s_delay_alu instid0(SALU_CYCLE_1)
	s_and_not1_b32 exec_lo, exec_lo, s15
	s_cbranch_execnz .LBB2_294
.LBB2_295:                              ;   in Loop: Header=BB2_234 Depth=1
	s_or_b32 exec_lo, exec_lo, s14
	global_load_b64 v[8:9], v13, s[2:3] offset:16
	s_mov_b32 s15, exec_lo
	s_mov_b32 s14, exec_lo
	v_mbcnt_lo_u32_b32 v1, s15, 0
	s_wait_xcnt 0x0
	s_delay_alu instid0(VALU_DEP_1)
	v_cmpx_eq_u32_e32 0, v1
	s_cbranch_execz .LBB2_297
; %bb.296:                              ;   in Loop: Header=BB2_234 Depth=1
	s_bcnt1_i32_b32 s15, s15
	s_delay_alu instid0(SALU_CYCLE_1)
	v_mov_b32_e32 v12, s15
	global_wb scope:SCOPE_SYS
	s_wait_loadcnt 0x0
	s_wait_storecnt 0x0
	global_atomic_add_u64 v[8:9], v[12:13], off offset:8 scope:SCOPE_SYS
.LBB2_297:                              ;   in Loop: Header=BB2_234 Depth=1
	s_wait_xcnt 0x0
	s_or_b32 exec_lo, exec_lo, s14
	s_wait_loadcnt 0x0
	global_load_b64 v[10:11], v[8:9], off offset:16
	s_wait_loadcnt 0x0
	v_cmp_eq_u64_e32 vcc_lo, 0, v[10:11]
	s_cbranch_vccnz .LBB2_299
; %bb.298:                              ;   in Loop: Header=BB2_234 Depth=1
	global_load_b32 v12, v[8:9], off offset:24
	s_wait_loadcnt 0x0
	v_readfirstlane_b32 s14, v12
	global_wb scope:SCOPE_SYS
	s_wait_storecnt 0x0
	s_wait_xcnt 0x0
	global_store_b64 v[10:11], v[12:13], off scope:SCOPE_SYS
	s_and_b32 m0, s14, 0xffffff
	s_sendmsg sendmsg(MSG_INTERRUPT)
.LBB2_299:                              ;   in Loop: Header=BB2_234 Depth=1
	s_wait_xcnt 0x0
	s_or_b32 exec_lo, exec_lo, s1
	v_mov_b32_e32 v5, v13
	s_delay_alu instid0(VALU_DEP_1)
	v_add_nc_u64_e32 v[8:9], v[30:31], v[4:5]
	s_branch .LBB2_303
.LBB2_300:                              ;   in Loop: Header=BB2_303 Depth=2
	s_wait_xcnt 0x0
	s_or_b32 exec_lo, exec_lo, s1
	s_delay_alu instid0(VALU_DEP_1)
	v_readfirstlane_b32 s1, v1
	s_cmp_eq_u32 s1, 0
	s_cbranch_scc1 .LBB2_302
; %bb.301:                              ;   in Loop: Header=BB2_303 Depth=2
	s_sleep 1
	s_cbranch_execnz .LBB2_303
	s_branch .LBB2_305
.LBB2_302:                              ;   in Loop: Header=BB2_234 Depth=1
	s_branch .LBB2_305
.LBB2_303:                              ;   Parent Loop BB2_234 Depth=1
                                        ; =>  This Inner Loop Header: Depth=2
	v_mov_b32_e32 v1, 1
	s_and_saveexec_b32 s1, s0
	s_cbranch_execz .LBB2_300
; %bb.304:                              ;   in Loop: Header=BB2_303 Depth=2
	global_load_b32 v1, v[32:33], off offset:20 scope:SCOPE_SYS
	s_wait_loadcnt 0x0
	global_inv scope:SCOPE_SYS
	v_and_b32_e32 v1, 1, v1
	s_branch .LBB2_300
.LBB2_305:                              ;   in Loop: Header=BB2_234 Depth=1
	global_load_b64 v[8:9], v[8:9], off
	s_wait_xcnt 0x0
	s_and_saveexec_b32 s14, s0
	s_cbranch_execz .LBB2_233
; %bb.306:                              ;   in Loop: Header=BB2_234 Depth=1
	s_clause 0x2
	global_load_b64 v[10:11], v13, s[2:3] offset:40
	global_load_b64 v[20:21], v13, s[2:3] offset:24 scope:SCOPE_SYS
	global_load_b64 v[16:17], v13, s[2:3]
	s_wait_loadcnt 0x2
	v_readfirstlane_b32 s16, v10
	v_readfirstlane_b32 s17, v11
	s_add_nc_u64 s[0:1], s[16:17], 1
	s_delay_alu instid0(SALU_CYCLE_1) | instskip(NEXT) | instid1(SALU_CYCLE_1)
	s_add_nc_u64 s[12:13], s[0:1], s[12:13]
	s_cmp_eq_u64 s[12:13], 0
	s_cselect_b32 s1, s1, s13
	s_cselect_b32 s0, s0, s12
	s_delay_alu instid0(SALU_CYCLE_1) | instskip(SKIP_1) | instid1(SALU_CYCLE_1)
	v_dual_mov_b32 v19, s1 :: v_dual_mov_b32 v18, s0
	s_and_b64 s[12:13], s[0:1], s[16:17]
	s_mul_u64 s[12:13], s[12:13], 24
	s_wait_loadcnt 0x0
	v_add_nc_u64_e32 v[10:11], s[12:13], v[16:17]
	global_store_b64 v[10:11], v[20:21], off
	global_wb scope:SCOPE_SYS
	s_wait_storecnt 0x0
	s_wait_xcnt 0x0
	global_atomic_cmpswap_b64 v[18:19], v13, v[18:21], s[2:3] offset:24 th:TH_ATOMIC_RETURN scope:SCOPE_SYS
	s_wait_loadcnt 0x0
	v_cmp_ne_u64_e32 vcc_lo, v[18:19], v[20:21]
	s_and_b32 exec_lo, exec_lo, vcc_lo
	s_cbranch_execz .LBB2_233
; %bb.307:                              ;   in Loop: Header=BB2_234 Depth=1
	s_mov_b32 s12, 0
.LBB2_308:                              ;   Parent Loop BB2_234 Depth=1
                                        ; =>  This Inner Loop Header: Depth=2
	v_dual_mov_b32 v16, s0 :: v_dual_mov_b32 v17, s1
	s_sleep 1
	global_store_b64 v[10:11], v[18:19], off
	global_wb scope:SCOPE_SYS
	s_wait_storecnt 0x0
	s_wait_xcnt 0x0
	global_atomic_cmpswap_b64 v[16:17], v13, v[16:19], s[2:3] offset:24 th:TH_ATOMIC_RETURN scope:SCOPE_SYS
	s_wait_loadcnt 0x0
	v_cmp_eq_u64_e32 vcc_lo, v[16:17], v[18:19]
	v_mov_b64_e32 v[18:19], v[16:17]
	s_or_b32 s12, vcc_lo, s12
	s_delay_alu instid0(SALU_CYCLE_1)
	s_and_not1_b32 exec_lo, exec_lo, s12
	s_cbranch_execnz .LBB2_308
	s_branch .LBB2_233
.LBB2_309:
	s_branch .LBB2_338
.LBB2_310:
                                        ; implicit-def: $vgpr8_vgpr9
	s_cbranch_execz .LBB2_338
; %bb.311:
	v_readfirstlane_b32 s0, v3
	v_mov_b64_e32 v[0:1], 0
	s_delay_alu instid0(VALU_DEP_2)
	v_cmp_eq_u32_e64 s0, s0, v3
	s_and_saveexec_b32 s1, s0
	s_cbranch_execz .LBB2_317
; %bb.312:
	v_mov_b32_e32 v5, 0
	s_mov_b32 s6, exec_lo
	global_load_b64 v[10:11], v5, s[2:3] offset:24 scope:SCOPE_SYS
	s_wait_loadcnt 0x0
	global_inv scope:SCOPE_SYS
	s_clause 0x1
	global_load_b64 v[0:1], v5, s[2:3] offset:40
	global_load_b64 v[8:9], v5, s[2:3]
	s_wait_loadcnt 0x1
	v_and_b32_e32 v0, v0, v10
	v_and_b32_e32 v1, v1, v11
	s_delay_alu instid0(VALU_DEP_1) | instskip(SKIP_1) | instid1(VALU_DEP_1)
	v_mul_u64_e32 v[0:1], 24, v[0:1]
	s_wait_loadcnt 0x0
	v_add_nc_u64_e32 v[0:1], v[8:9], v[0:1]
	global_load_b64 v[8:9], v[0:1], off scope:SCOPE_SYS
	s_wait_xcnt 0x0
	s_wait_loadcnt 0x0
	global_atomic_cmpswap_b64 v[0:1], v5, v[8:11], s[2:3] offset:24 th:TH_ATOMIC_RETURN scope:SCOPE_SYS
	s_wait_loadcnt 0x0
	global_inv scope:SCOPE_SYS
	s_wait_xcnt 0x0
	v_cmpx_ne_u64_e64 v[0:1], v[10:11]
	s_cbranch_execz .LBB2_316
; %bb.313:
	s_mov_b32 s7, 0
.LBB2_314:                              ; =>This Inner Loop Header: Depth=1
	s_sleep 1
	s_clause 0x1
	global_load_b64 v[8:9], v5, s[2:3] offset:40
	global_load_b64 v[12:13], v5, s[2:3]
	v_mov_b64_e32 v[10:11], v[0:1]
	s_wait_loadcnt 0x1
	s_delay_alu instid0(VALU_DEP_1) | instskip(NEXT) | instid1(VALU_DEP_2)
	v_and_b32_e32 v0, v8, v10
	v_and_b32_e32 v8, v9, v11
	s_wait_loadcnt 0x0
	s_delay_alu instid0(VALU_DEP_2) | instskip(NEXT) | instid1(VALU_DEP_1)
	v_mad_nc_u64_u32 v[0:1], v0, 24, v[12:13]
	v_mad_u32 v1, v8, 24, v1
	global_load_b64 v[8:9], v[0:1], off scope:SCOPE_SYS
	s_wait_xcnt 0x0
	s_wait_loadcnt 0x0
	global_atomic_cmpswap_b64 v[0:1], v5, v[8:11], s[2:3] offset:24 th:TH_ATOMIC_RETURN scope:SCOPE_SYS
	s_wait_loadcnt 0x0
	global_inv scope:SCOPE_SYS
	v_cmp_eq_u64_e32 vcc_lo, v[0:1], v[10:11]
	s_or_b32 s7, vcc_lo, s7
	s_wait_xcnt 0x0
	s_and_not1_b32 exec_lo, exec_lo, s7
	s_cbranch_execnz .LBB2_314
; %bb.315:
	s_or_b32 exec_lo, exec_lo, s7
.LBB2_316:
	s_delay_alu instid0(SALU_CYCLE_1)
	s_or_b32 exec_lo, exec_lo, s6
.LBB2_317:
	s_delay_alu instid0(SALU_CYCLE_1)
	s_or_b32 exec_lo, exec_lo, s1
	v_readfirstlane_b32 s6, v0
	v_mov_b32_e32 v5, 0
	v_readfirstlane_b32 s7, v1
	s_mov_b32 s1, exec_lo
	s_wait_loadcnt 0x0
	s_clause 0x1
	global_load_b64 v[8:9], v5, s[2:3] offset:40
	global_load_b128 v[10:13], v5, s[2:3]
	s_wait_loadcnt 0x1
	v_and_b32_e32 v8, s6, v8
	v_and_b32_e32 v9, s7, v9
	s_delay_alu instid0(VALU_DEP_1) | instskip(SKIP_1) | instid1(VALU_DEP_1)
	v_mul_u64_e32 v[0:1], 24, v[8:9]
	s_wait_loadcnt 0x0
	v_add_nc_u64_e32 v[0:1], v[10:11], v[0:1]
	s_wait_xcnt 0x0
	s_and_saveexec_b32 s8, s0
	s_cbranch_execz .LBB2_319
; %bb.318:
	v_mov_b64_e32 v[16:17], 0x100000002
	v_dual_mov_b32 v14, s1 :: v_dual_mov_b32 v15, v5
	global_store_b128 v[0:1], v[14:17], off offset:8
.LBB2_319:
	s_wait_xcnt 0x0
	s_or_b32 exec_lo, exec_lo, s8
	v_lshlrev_b64_e32 v[8:9], 12, v[8:9]
	s_mov_b32 s8, 0
	v_and_or_b32 v6, 0xffffff1f, v6, 32
	s_mov_b32 s10, s8
	s_mov_b32 s11, s8
	;; [unrolled: 1-line block ×3, first 2 shown]
	v_mov_b64_e32 v[16:17], s[10:11]
	v_add_nc_u64_e32 v[12:13], v[12:13], v[8:9]
	v_mov_b64_e32 v[14:15], s[8:9]
	v_dual_mov_b32 v8, v5 :: v_dual_mov_b32 v9, v5
	s_delay_alu instid0(VALU_DEP_3) | instskip(NEXT) | instid1(VALU_DEP_4)
	v_readfirstlane_b32 s12, v12
	v_readfirstlane_b32 s13, v13
	s_clause 0x3
	global_store_b128 v4, v[6:9], s[12:13]
	global_store_b128 v4, v[14:17], s[12:13] offset:16
	global_store_b128 v4, v[14:17], s[12:13] offset:32
	;; [unrolled: 1-line block ×3, first 2 shown]
	s_wait_xcnt 0x0
	s_and_saveexec_b32 s1, s0
	s_cbranch_execz .LBB2_327
; %bb.320:
	v_dual_mov_b32 v14, 0 :: v_dual_mov_b32 v17, s7
	s_mov_b32 s8, exec_lo
	s_clause 0x1
	global_load_b64 v[18:19], v14, s[2:3] offset:32 scope:SCOPE_SYS
	global_load_b64 v[6:7], v14, s[2:3] offset:40
	s_wait_loadcnt 0x0
	v_dual_mov_b32 v16, s6 :: v_dual_bitop2_b32 v7, s7, v7 bitop3:0x40
	v_and_b32_e32 v6, s6, v6
	s_delay_alu instid0(VALU_DEP_1) | instskip(NEXT) | instid1(VALU_DEP_1)
	v_mul_u64_e32 v[6:7], 24, v[6:7]
	v_add_nc_u64_e32 v[10:11], v[10:11], v[6:7]
	global_store_b64 v[10:11], v[18:19], off
	global_wb scope:SCOPE_SYS
	s_wait_storecnt 0x0
	s_wait_xcnt 0x0
	global_atomic_cmpswap_b64 v[8:9], v14, v[16:19], s[2:3] offset:32 th:TH_ATOMIC_RETURN scope:SCOPE_SYS
	s_wait_loadcnt 0x0
	v_cmpx_ne_u64_e64 v[8:9], v[18:19]
	s_cbranch_execz .LBB2_323
; %bb.321:
	s_mov_b32 s9, 0
.LBB2_322:                              ; =>This Inner Loop Header: Depth=1
	v_dual_mov_b32 v6, s6 :: v_dual_mov_b32 v7, s7
	s_sleep 1
	global_store_b64 v[10:11], v[8:9], off
	global_wb scope:SCOPE_SYS
	s_wait_storecnt 0x0
	s_wait_xcnt 0x0
	global_atomic_cmpswap_b64 v[6:7], v14, v[6:9], s[2:3] offset:32 th:TH_ATOMIC_RETURN scope:SCOPE_SYS
	s_wait_loadcnt 0x0
	v_cmp_eq_u64_e32 vcc_lo, v[6:7], v[8:9]
	v_mov_b64_e32 v[8:9], v[6:7]
	s_or_b32 s9, vcc_lo, s9
	s_delay_alu instid0(SALU_CYCLE_1)
	s_and_not1_b32 exec_lo, exec_lo, s9
	s_cbranch_execnz .LBB2_322
.LBB2_323:
	s_or_b32 exec_lo, exec_lo, s8
	v_mov_b32_e32 v9, 0
	s_mov_b32 s9, exec_lo
	s_mov_b32 s8, exec_lo
	v_mbcnt_lo_u32_b32 v8, s9, 0
	global_load_b64 v[6:7], v9, s[2:3] offset:16
	s_wait_xcnt 0x0
	v_cmpx_eq_u32_e32 0, v8
	s_cbranch_execz .LBB2_325
; %bb.324:
	s_bcnt1_i32_b32 s9, s9
	s_delay_alu instid0(SALU_CYCLE_1)
	v_mov_b32_e32 v8, s9
	global_wb scope:SCOPE_SYS
	s_wait_loadcnt 0x0
	s_wait_storecnt 0x0
	global_atomic_add_u64 v[6:7], v[8:9], off offset:8 scope:SCOPE_SYS
.LBB2_325:
	s_wait_xcnt 0x0
	s_or_b32 exec_lo, exec_lo, s8
	s_wait_loadcnt 0x0
	global_load_b64 v[8:9], v[6:7], off offset:16
	s_wait_loadcnt 0x0
	v_cmp_eq_u64_e32 vcc_lo, 0, v[8:9]
	s_cbranch_vccnz .LBB2_327
; %bb.326:
	global_load_b32 v6, v[6:7], off offset:24
	s_wait_xcnt 0x0
	v_mov_b32_e32 v7, 0
	s_wait_loadcnt 0x0
	v_readfirstlane_b32 s8, v6
	global_wb scope:SCOPE_SYS
	s_wait_storecnt 0x0
	global_store_b64 v[8:9], v[6:7], off scope:SCOPE_SYS
	s_and_b32 m0, s8, 0xffffff
	s_sendmsg sendmsg(MSG_INTERRUPT)
.LBB2_327:
	s_wait_xcnt 0x0
	s_or_b32 exec_lo, exec_lo, s1
	v_add_nc_u64_e32 v[6:7], v[12:13], v[4:5]
	s_branch .LBB2_331
.LBB2_328:                              ;   in Loop: Header=BB2_331 Depth=1
	s_wait_xcnt 0x0
	s_or_b32 exec_lo, exec_lo, s1
	s_delay_alu instid0(VALU_DEP_1)
	v_readfirstlane_b32 s1, v5
	s_cmp_eq_u32 s1, 0
	s_cbranch_scc1 .LBB2_330
; %bb.329:                              ;   in Loop: Header=BB2_331 Depth=1
	s_sleep 1
	s_cbranch_execnz .LBB2_331
	s_branch .LBB2_333
.LBB2_330:
	s_branch .LBB2_333
.LBB2_331:                              ; =>This Inner Loop Header: Depth=1
	v_mov_b32_e32 v5, 1
	s_and_saveexec_b32 s1, s0
	s_cbranch_execz .LBB2_328
; %bb.332:                              ;   in Loop: Header=BB2_331 Depth=1
	global_load_b32 v5, v[0:1], off offset:20 scope:SCOPE_SYS
	s_wait_loadcnt 0x0
	global_inv scope:SCOPE_SYS
	v_and_b32_e32 v5, 1, v5
	s_branch .LBB2_328
.LBB2_333:
	global_load_b64 v[8:9], v[6:7], off
	s_wait_xcnt 0x0
	s_and_saveexec_b32 s8, s0
	s_cbranch_execz .LBB2_337
; %bb.334:
	v_mov_b32_e32 v5, 0
	s_clause 0x2
	global_load_b64 v[0:1], v5, s[2:3] offset:40
	global_load_b64 v[14:15], v5, s[2:3] offset:24 scope:SCOPE_SYS
	global_load_b64 v[6:7], v5, s[2:3]
	s_wait_loadcnt 0x2
	v_readfirstlane_b32 s10, v0
	v_readfirstlane_b32 s11, v1
	s_add_nc_u64 s[0:1], s[10:11], 1
	s_delay_alu instid0(SALU_CYCLE_1) | instskip(NEXT) | instid1(SALU_CYCLE_1)
	s_add_nc_u64 s[6:7], s[0:1], s[6:7]
	s_cmp_eq_u64 s[6:7], 0
	s_cselect_b32 s1, s1, s7
	s_cselect_b32 s0, s0, s6
	v_mov_b32_e32 v13, s1
	s_and_b64 s[6:7], s[0:1], s[10:11]
	v_mov_b32_e32 v12, s0
	s_mul_u64 s[6:7], s[6:7], 24
	s_wait_loadcnt 0x0
	v_add_nc_u64_e32 v[0:1], s[6:7], v[6:7]
	global_store_b64 v[0:1], v[14:15], off
	global_wb scope:SCOPE_SYS
	s_wait_storecnt 0x0
	s_wait_xcnt 0x0
	global_atomic_cmpswap_b64 v[12:13], v5, v[12:15], s[2:3] offset:24 th:TH_ATOMIC_RETURN scope:SCOPE_SYS
	s_wait_loadcnt 0x0
	v_cmp_ne_u64_e32 vcc_lo, v[12:13], v[14:15]
	s_and_b32 exec_lo, exec_lo, vcc_lo
	s_cbranch_execz .LBB2_337
; %bb.335:
	s_mov_b32 s6, 0
.LBB2_336:                              ; =>This Inner Loop Header: Depth=1
	v_dual_mov_b32 v10, s0 :: v_dual_mov_b32 v11, s1
	s_sleep 1
	global_store_b64 v[0:1], v[12:13], off
	global_wb scope:SCOPE_SYS
	s_wait_storecnt 0x0
	s_wait_xcnt 0x0
	global_atomic_cmpswap_b64 v[6:7], v5, v[10:13], s[2:3] offset:24 th:TH_ATOMIC_RETURN scope:SCOPE_SYS
	s_wait_loadcnt 0x0
	v_cmp_eq_u64_e32 vcc_lo, v[6:7], v[12:13]
	v_mov_b64_e32 v[12:13], v[6:7]
	s_or_b32 s6, vcc_lo, s6
	s_delay_alu instid0(SALU_CYCLE_1)
	s_and_not1_b32 exec_lo, exec_lo, s6
	s_cbranch_execnz .LBB2_336
.LBB2_337:
	s_or_b32 exec_lo, exec_lo, s8
.LBB2_338:
	v_readfirstlane_b32 s0, v3
	v_mov_b64_e32 v[0:1], 0
	s_delay_alu instid0(VALU_DEP_2)
	v_cmp_eq_u32_e64 s0, s0, v3
	s_and_saveexec_b32 s1, s0
	s_cbranch_execz .LBB2_344
; %bb.339:
	v_mov_b32_e32 v5, 0
	s_mov_b32 s6, exec_lo
	global_load_b64 v[12:13], v5, s[2:3] offset:24 scope:SCOPE_SYS
	s_wait_loadcnt 0x0
	global_inv scope:SCOPE_SYS
	s_clause 0x1
	global_load_b64 v[0:1], v5, s[2:3] offset:40
	global_load_b64 v[6:7], v5, s[2:3]
	s_wait_loadcnt 0x1
	v_and_b32_e32 v0, v0, v12
	v_and_b32_e32 v1, v1, v13
	s_delay_alu instid0(VALU_DEP_1) | instskip(SKIP_1) | instid1(VALU_DEP_1)
	v_mul_u64_e32 v[0:1], 24, v[0:1]
	s_wait_loadcnt 0x0
	v_add_nc_u64_e32 v[0:1], v[6:7], v[0:1]
	global_load_b64 v[10:11], v[0:1], off scope:SCOPE_SYS
	s_wait_xcnt 0x0
	s_wait_loadcnt 0x0
	global_atomic_cmpswap_b64 v[0:1], v5, v[10:13], s[2:3] offset:24 th:TH_ATOMIC_RETURN scope:SCOPE_SYS
	s_wait_loadcnt 0x0
	global_inv scope:SCOPE_SYS
	s_wait_xcnt 0x0
	v_cmpx_ne_u64_e64 v[0:1], v[12:13]
	s_cbranch_execz .LBB2_343
; %bb.340:
	s_mov_b32 s7, 0
.LBB2_341:                              ; =>This Inner Loop Header: Depth=1
	s_sleep 1
	s_clause 0x1
	global_load_b64 v[6:7], v5, s[2:3] offset:40
	global_load_b64 v[10:11], v5, s[2:3]
	v_mov_b64_e32 v[12:13], v[0:1]
	s_wait_loadcnt 0x1
	s_delay_alu instid0(VALU_DEP_1) | instskip(NEXT) | instid1(VALU_DEP_2)
	v_and_b32_e32 v0, v6, v12
	v_and_b32_e32 v6, v7, v13
	s_wait_loadcnt 0x0
	s_delay_alu instid0(VALU_DEP_2) | instskip(NEXT) | instid1(VALU_DEP_1)
	v_mad_nc_u64_u32 v[0:1], v0, 24, v[10:11]
	v_mad_u32 v1, v6, 24, v1
	global_load_b64 v[10:11], v[0:1], off scope:SCOPE_SYS
	s_wait_xcnt 0x0
	s_wait_loadcnt 0x0
	global_atomic_cmpswap_b64 v[0:1], v5, v[10:13], s[2:3] offset:24 th:TH_ATOMIC_RETURN scope:SCOPE_SYS
	s_wait_loadcnt 0x0
	global_inv scope:SCOPE_SYS
	v_cmp_eq_u64_e32 vcc_lo, v[0:1], v[12:13]
	s_or_b32 s7, vcc_lo, s7
	s_wait_xcnt 0x0
	s_and_not1_b32 exec_lo, exec_lo, s7
	s_cbranch_execnz .LBB2_341
; %bb.342:
	s_or_b32 exec_lo, exec_lo, s7
.LBB2_343:
	s_delay_alu instid0(SALU_CYCLE_1)
	s_or_b32 exec_lo, exec_lo, s6
.LBB2_344:
	s_delay_alu instid0(SALU_CYCLE_1)
	s_or_b32 exec_lo, exec_lo, s1
	v_readfirstlane_b32 s6, v0
	v_mov_b32_e32 v5, 0
	v_readfirstlane_b32 s7, v1
	s_mov_b32 s1, exec_lo
	s_wait_loadcnt 0x0
	s_clause 0x1
	global_load_b64 v[6:7], v5, s[2:3] offset:40
	global_load_b128 v[12:15], v5, s[2:3]
	s_wait_loadcnt 0x1
	v_and_b32_e32 v6, s6, v6
	v_and_b32_e32 v7, s7, v7
	s_delay_alu instid0(VALU_DEP_1) | instskip(SKIP_1) | instid1(VALU_DEP_1)
	v_mul_u64_e32 v[0:1], 24, v[6:7]
	s_wait_loadcnt 0x0
	v_add_nc_u64_e32 v[0:1], v[12:13], v[0:1]
	s_wait_xcnt 0x0
	s_and_saveexec_b32 s8, s0
	s_cbranch_execz .LBB2_346
; %bb.345:
	v_mov_b64_e32 v[18:19], 0x100000002
	v_dual_mov_b32 v16, s1 :: v_dual_mov_b32 v17, v5
	global_store_b128 v[0:1], v[16:19], off offset:8
.LBB2_346:
	s_wait_xcnt 0x0
	s_or_b32 exec_lo, exec_lo, s8
	v_lshlrev_b64_e32 v[6:7], 12, v[6:7]
	s_mov_b32 s8, 0
	v_and_or_b32 v8, 0xffffff1f, v8, 32
	s_mov_b32 s10, s8
	s_mov_b32 s11, s8
	;; [unrolled: 1-line block ×3, first 2 shown]
	v_mov_b64_e32 v[18:19], s[10:11]
	v_add_nc_u64_e32 v[14:15], v[14:15], v[6:7]
	v_mov_b64_e32 v[16:17], s[8:9]
	v_dual_mov_b32 v10, 7 :: v_dual_mov_b32 v11, v5
	s_delay_alu instid0(VALU_DEP_3) | instskip(NEXT) | instid1(VALU_DEP_4)
	v_readfirstlane_b32 s12, v14
	v_readfirstlane_b32 s13, v15
	s_clause 0x3
	global_store_b128 v4, v[8:11], s[12:13]
	global_store_b128 v4, v[16:19], s[12:13] offset:16
	global_store_b128 v4, v[16:19], s[12:13] offset:32
	;; [unrolled: 1-line block ×3, first 2 shown]
	s_wait_xcnt 0x0
	s_and_saveexec_b32 s1, s0
	s_cbranch_execz .LBB2_354
; %bb.347:
	v_dual_mov_b32 v16, 0 :: v_dual_mov_b32 v19, s7
	s_mov_b32 s8, exec_lo
	s_clause 0x1
	global_load_b64 v[20:21], v16, s[2:3] offset:32 scope:SCOPE_SYS
	global_load_b64 v[6:7], v16, s[2:3] offset:40
	s_wait_loadcnt 0x0
	v_dual_mov_b32 v18, s6 :: v_dual_bitop2_b32 v7, s7, v7 bitop3:0x40
	v_and_b32_e32 v6, s6, v6
	s_delay_alu instid0(VALU_DEP_1) | instskip(NEXT) | instid1(VALU_DEP_1)
	v_mul_u64_e32 v[6:7], 24, v[6:7]
	v_add_nc_u64_e32 v[10:11], v[12:13], v[6:7]
	global_store_b64 v[10:11], v[20:21], off
	global_wb scope:SCOPE_SYS
	s_wait_storecnt 0x0
	s_wait_xcnt 0x0
	global_atomic_cmpswap_b64 v[8:9], v16, v[18:21], s[2:3] offset:32 th:TH_ATOMIC_RETURN scope:SCOPE_SYS
	s_wait_loadcnt 0x0
	v_cmpx_ne_u64_e64 v[8:9], v[20:21]
	s_cbranch_execz .LBB2_350
; %bb.348:
	s_mov_b32 s9, 0
.LBB2_349:                              ; =>This Inner Loop Header: Depth=1
	v_dual_mov_b32 v6, s6 :: v_dual_mov_b32 v7, s7
	s_sleep 1
	global_store_b64 v[10:11], v[8:9], off
	global_wb scope:SCOPE_SYS
	s_wait_storecnt 0x0
	s_wait_xcnt 0x0
	global_atomic_cmpswap_b64 v[6:7], v16, v[6:9], s[2:3] offset:32 th:TH_ATOMIC_RETURN scope:SCOPE_SYS
	s_wait_loadcnt 0x0
	v_cmp_eq_u64_e32 vcc_lo, v[6:7], v[8:9]
	v_mov_b64_e32 v[8:9], v[6:7]
	s_or_b32 s9, vcc_lo, s9
	s_delay_alu instid0(SALU_CYCLE_1)
	s_and_not1_b32 exec_lo, exec_lo, s9
	s_cbranch_execnz .LBB2_349
.LBB2_350:
	s_or_b32 exec_lo, exec_lo, s8
	v_mov_b32_e32 v9, 0
	s_mov_b32 s9, exec_lo
	s_mov_b32 s8, exec_lo
	v_mbcnt_lo_u32_b32 v8, s9, 0
	global_load_b64 v[6:7], v9, s[2:3] offset:16
	s_wait_xcnt 0x0
	v_cmpx_eq_u32_e32 0, v8
	s_cbranch_execz .LBB2_352
; %bb.351:
	s_bcnt1_i32_b32 s9, s9
	s_delay_alu instid0(SALU_CYCLE_1)
	v_mov_b32_e32 v8, s9
	global_wb scope:SCOPE_SYS
	s_wait_loadcnt 0x0
	s_wait_storecnt 0x0
	global_atomic_add_u64 v[6:7], v[8:9], off offset:8 scope:SCOPE_SYS
.LBB2_352:
	s_wait_xcnt 0x0
	s_or_b32 exec_lo, exec_lo, s8
	s_wait_loadcnt 0x0
	global_load_b64 v[8:9], v[6:7], off offset:16
	s_wait_loadcnt 0x0
	v_cmp_eq_u64_e32 vcc_lo, 0, v[8:9]
	s_cbranch_vccnz .LBB2_354
; %bb.353:
	global_load_b32 v6, v[6:7], off offset:24
	s_wait_xcnt 0x0
	v_mov_b32_e32 v7, 0
	s_wait_loadcnt 0x0
	v_readfirstlane_b32 s8, v6
	global_wb scope:SCOPE_SYS
	s_wait_storecnt 0x0
	global_store_b64 v[8:9], v[6:7], off scope:SCOPE_SYS
	s_and_b32 m0, s8, 0xffffff
	s_sendmsg sendmsg(MSG_INTERRUPT)
.LBB2_354:
	s_wait_xcnt 0x0
	s_or_b32 exec_lo, exec_lo, s1
	v_add_nc_u64_e32 v[6:7], v[14:15], v[4:5]
	s_branch .LBB2_358
.LBB2_355:                              ;   in Loop: Header=BB2_358 Depth=1
	s_wait_xcnt 0x0
	s_or_b32 exec_lo, exec_lo, s1
	s_delay_alu instid0(VALU_DEP_1)
	v_readfirstlane_b32 s1, v5
	s_cmp_eq_u32 s1, 0
	s_cbranch_scc1 .LBB2_357
; %bb.356:                              ;   in Loop: Header=BB2_358 Depth=1
	s_sleep 1
	s_cbranch_execnz .LBB2_358
	s_branch .LBB2_360
.LBB2_357:
	s_branch .LBB2_360
.LBB2_358:                              ; =>This Inner Loop Header: Depth=1
	v_mov_b32_e32 v5, 1
	s_and_saveexec_b32 s1, s0
	s_cbranch_execz .LBB2_355
; %bb.359:                              ;   in Loop: Header=BB2_358 Depth=1
	global_load_b32 v5, v[0:1], off offset:20 scope:SCOPE_SYS
	s_wait_loadcnt 0x0
	global_inv scope:SCOPE_SYS
	v_and_b32_e32 v5, 1, v5
	s_branch .LBB2_355
.LBB2_360:
	global_load_b64 v[0:1], v[6:7], off
	s_wait_xcnt 0x0
	s_and_saveexec_b32 s8, s0
	s_cbranch_execz .LBB2_364
; %bb.361:
	v_mov_b32_e32 v5, 0
	s_clause 0x2
	global_load_b64 v[6:7], v5, s[2:3] offset:40
	global_load_b64 v[14:15], v5, s[2:3] offset:24 scope:SCOPE_SYS
	global_load_b64 v[8:9], v5, s[2:3]
	s_wait_loadcnt 0x2
	v_readfirstlane_b32 s10, v6
	v_readfirstlane_b32 s11, v7
	s_add_nc_u64 s[0:1], s[10:11], 1
	s_delay_alu instid0(SALU_CYCLE_1) | instskip(NEXT) | instid1(SALU_CYCLE_1)
	s_add_nc_u64 s[6:7], s[0:1], s[6:7]
	s_cmp_eq_u64 s[6:7], 0
	s_cselect_b32 s1, s1, s7
	s_cselect_b32 s0, s0, s6
	v_mov_b32_e32 v13, s1
	s_and_b64 s[6:7], s[0:1], s[10:11]
	v_mov_b32_e32 v12, s0
	s_mul_u64 s[6:7], s[6:7], 24
	s_wait_loadcnt 0x0
	v_add_nc_u64_e32 v[10:11], s[6:7], v[8:9]
	global_store_b64 v[10:11], v[14:15], off
	global_wb scope:SCOPE_SYS
	s_wait_storecnt 0x0
	s_wait_xcnt 0x0
	global_atomic_cmpswap_b64 v[8:9], v5, v[12:15], s[2:3] offset:24 th:TH_ATOMIC_RETURN scope:SCOPE_SYS
	s_wait_loadcnt 0x0
	v_cmp_ne_u64_e32 vcc_lo, v[8:9], v[14:15]
	s_and_b32 exec_lo, exec_lo, vcc_lo
	s_cbranch_execz .LBB2_364
; %bb.362:
	s_mov_b32 s6, 0
.LBB2_363:                              ; =>This Inner Loop Header: Depth=1
	v_dual_mov_b32 v6, s0 :: v_dual_mov_b32 v7, s1
	s_sleep 1
	global_store_b64 v[10:11], v[8:9], off
	global_wb scope:SCOPE_SYS
	s_wait_storecnt 0x0
	s_wait_xcnt 0x0
	global_atomic_cmpswap_b64 v[6:7], v5, v[6:9], s[2:3] offset:24 th:TH_ATOMIC_RETURN scope:SCOPE_SYS
	s_wait_loadcnt 0x0
	v_cmp_eq_u64_e32 vcc_lo, v[6:7], v[8:9]
	v_mov_b64_e32 v[8:9], v[6:7]
	s_or_b32 s6, vcc_lo, s6
	s_delay_alu instid0(SALU_CYCLE_1)
	s_and_not1_b32 exec_lo, exec_lo, s6
	s_cbranch_execnz .LBB2_363
.LBB2_364:
	s_or_b32 exec_lo, exec_lo, s8
	v_readfirstlane_b32 s0, v3
	v_mov_b64_e32 v[10:11], 0
	s_delay_alu instid0(VALU_DEP_2)
	v_cmp_eq_u32_e64 s0, s0, v3
	s_and_saveexec_b32 s1, s0
	s_cbranch_execz .LBB2_370
; %bb.365:
	v_mov_b32_e32 v3, 0
	s_mov_b32 s6, exec_lo
	global_load_b64 v[8:9], v3, s[2:3] offset:24 scope:SCOPE_SYS
	s_wait_loadcnt 0x0
	global_inv scope:SCOPE_SYS
	s_clause 0x1
	global_load_b64 v[6:7], v3, s[2:3] offset:40
	global_load_b64 v[10:11], v3, s[2:3]
	s_wait_loadcnt 0x1
	v_and_b32_e32 v6, v6, v8
	v_and_b32_e32 v7, v7, v9
	s_delay_alu instid0(VALU_DEP_1) | instskip(SKIP_1) | instid1(VALU_DEP_1)
	v_mul_u64_e32 v[6:7], 24, v[6:7]
	s_wait_loadcnt 0x0
	v_add_nc_u64_e32 v[6:7], v[10:11], v[6:7]
	global_load_b64 v[6:7], v[6:7], off scope:SCOPE_SYS
	s_wait_xcnt 0x0
	s_wait_loadcnt 0x0
	global_atomic_cmpswap_b64 v[10:11], v3, v[6:9], s[2:3] offset:24 th:TH_ATOMIC_RETURN scope:SCOPE_SYS
	s_wait_loadcnt 0x0
	global_inv scope:SCOPE_SYS
	s_wait_xcnt 0x0
	v_cmpx_ne_u64_e64 v[10:11], v[8:9]
	s_cbranch_execz .LBB2_369
; %bb.366:
	s_mov_b32 s7, 0
.LBB2_367:                              ; =>This Inner Loop Header: Depth=1
	s_sleep 1
	s_clause 0x1
	global_load_b64 v[6:7], v3, s[2:3] offset:40
	global_load_b64 v[12:13], v3, s[2:3]
	v_mov_b64_e32 v[8:9], v[10:11]
	s_wait_loadcnt 0x1
	s_delay_alu instid0(VALU_DEP_1) | instskip(SKIP_1) | instid1(VALU_DEP_1)
	v_and_b32_e32 v5, v6, v8
	s_wait_loadcnt 0x0
	v_mad_nc_u64_u32 v[10:11], v5, 24, v[12:13]
	s_delay_alu instid0(VALU_DEP_3) | instskip(NEXT) | instid1(VALU_DEP_1)
	v_and_b32_e32 v5, v7, v9
	v_mad_u32 v11, v5, 24, v11
	global_load_b64 v[6:7], v[10:11], off scope:SCOPE_SYS
	s_wait_xcnt 0x0
	s_wait_loadcnt 0x0
	global_atomic_cmpswap_b64 v[10:11], v3, v[6:9], s[2:3] offset:24 th:TH_ATOMIC_RETURN scope:SCOPE_SYS
	s_wait_loadcnt 0x0
	global_inv scope:SCOPE_SYS
	v_cmp_eq_u64_e32 vcc_lo, v[10:11], v[8:9]
	s_or_b32 s7, vcc_lo, s7
	s_wait_xcnt 0x0
	s_and_not1_b32 exec_lo, exec_lo, s7
	s_cbranch_execnz .LBB2_367
; %bb.368:
	s_or_b32 exec_lo, exec_lo, s7
.LBB2_369:
	s_delay_alu instid0(SALU_CYCLE_1)
	s_or_b32 exec_lo, exec_lo, s6
.LBB2_370:
	s_delay_alu instid0(SALU_CYCLE_1)
	s_or_b32 exec_lo, exec_lo, s1
	v_readfirstlane_b32 s6, v10
	v_mov_b32_e32 v3, 0
	v_readfirstlane_b32 s7, v11
	s_mov_b32 s1, exec_lo
	s_clause 0x1
	global_load_b64 v[12:13], v3, s[2:3] offset:40
	global_load_b128 v[6:9], v3, s[2:3]
	s_wait_loadcnt 0x1
	v_and_b32_e32 v12, s6, v12
	v_and_b32_e32 v13, s7, v13
	s_delay_alu instid0(VALU_DEP_1) | instskip(SKIP_1) | instid1(VALU_DEP_1)
	v_mul_u64_e32 v[10:11], 24, v[12:13]
	s_wait_loadcnt 0x0
	v_add_nc_u64_e32 v[10:11], v[6:7], v[10:11]
	s_wait_xcnt 0x0
	s_and_saveexec_b32 s8, s0
	s_cbranch_execz .LBB2_372
; %bb.371:
	v_mov_b64_e32 v[16:17], 0x100000002
	v_dual_mov_b32 v14, s1 :: v_dual_mov_b32 v15, v3
	global_store_b128 v[10:11], v[14:17], off offset:8
.LBB2_372:
	s_wait_xcnt 0x0
	s_or_b32 exec_lo, exec_lo, s8
	v_lshlrev_b64_e32 v[12:13], 12, v[12:13]
	s_mov_b32 s8, 0
	v_and_or_b32 v0, 0xffffff1d, v0, 34
	s_mov_b32 s10, s8
	s_mov_b32 s11, s8
	;; [unrolled: 1-line block ×3, first 2 shown]
	s_delay_alu instid0(VALU_DEP_2) | instskip(SKIP_2) | instid1(VALU_DEP_3)
	v_add_nc_u64_e32 v[8:9], v[8:9], v[12:13]
	v_mov_b64_e32 v[14:15], s[10:11]
	v_mov_b64_e32 v[12:13], s[8:9]
	v_readfirstlane_b32 s12, v8
	s_delay_alu instid0(VALU_DEP_4)
	v_readfirstlane_b32 s13, v9
	s_wait_dscnt 0x0
	s_clause 0x3
	global_store_b128 v4, v[0:3], s[12:13]
	global_store_b128 v4, v[12:15], s[12:13] offset:16
	global_store_b128 v4, v[12:15], s[12:13] offset:32
	;; [unrolled: 1-line block ×3, first 2 shown]
	s_wait_xcnt 0x0
	s_and_saveexec_b32 s1, s0
	s_cbranch_execz .LBB2_380
; %bb.373:
	v_mov_b32_e32 v3, 0
	s_mov_b32 s8, exec_lo
	s_clause 0x1
	global_load_b64 v[8:9], v3, s[2:3] offset:32 scope:SCOPE_SYS
	global_load_b64 v[0:1], v3, s[2:3] offset:40
	s_wait_loadcnt 0x0
	v_and_b32_e32 v0, s6, v0
	v_and_b32_e32 v1, s7, v1
	s_delay_alu instid0(VALU_DEP_1) | instskip(NEXT) | instid1(VALU_DEP_1)
	v_mul_u64_e32 v[0:1], 24, v[0:1]
	v_add_nc_u64_e32 v[0:1], v[6:7], v[0:1]
	v_dual_mov_b32 v6, s6 :: v_dual_mov_b32 v7, s7
	global_store_b64 v[0:1], v[8:9], off
	global_wb scope:SCOPE_SYS
	s_wait_storecnt 0x0
	s_wait_xcnt 0x0
	global_atomic_cmpswap_b64 v[6:7], v3, v[6:9], s[2:3] offset:32 th:TH_ATOMIC_RETURN scope:SCOPE_SYS
	s_wait_loadcnt 0x0
	v_cmpx_ne_u64_e64 v[6:7], v[8:9]
	s_cbranch_execz .LBB2_376
; %bb.374:
	s_mov_b32 s9, 0
.LBB2_375:                              ; =>This Inner Loop Header: Depth=1
	v_dual_mov_b32 v4, s6 :: v_dual_mov_b32 v5, s7
	s_sleep 1
	global_store_b64 v[0:1], v[6:7], off
	global_wb scope:SCOPE_SYS
	s_wait_storecnt 0x0
	s_wait_xcnt 0x0
	global_atomic_cmpswap_b64 v[4:5], v3, v[4:7], s[2:3] offset:32 th:TH_ATOMIC_RETURN scope:SCOPE_SYS
	s_wait_loadcnt 0x0
	v_cmp_eq_u64_e32 vcc_lo, v[4:5], v[6:7]
	v_mov_b64_e32 v[6:7], v[4:5]
	s_or_b32 s9, vcc_lo, s9
	s_delay_alu instid0(SALU_CYCLE_1)
	s_and_not1_b32 exec_lo, exec_lo, s9
	s_cbranch_execnz .LBB2_375
.LBB2_376:
	s_or_b32 exec_lo, exec_lo, s8
	v_mov_b32_e32 v5, 0
	s_mov_b32 s9, exec_lo
	s_mov_b32 s8, exec_lo
	v_mbcnt_lo_u32_b32 v3, s9, 0
	global_load_b64 v[0:1], v5, s[2:3] offset:16
	s_wait_xcnt 0x0
	v_cmpx_eq_u32_e32 0, v3
	s_cbranch_execz .LBB2_378
; %bb.377:
	s_bcnt1_i32_b32 s9, s9
	s_delay_alu instid0(SALU_CYCLE_1)
	v_mov_b32_e32 v4, s9
	global_wb scope:SCOPE_SYS
	s_wait_loadcnt 0x0
	s_wait_storecnt 0x0
	global_atomic_add_u64 v[0:1], v[4:5], off offset:8 scope:SCOPE_SYS
.LBB2_378:
	s_wait_xcnt 0x0
	s_or_b32 exec_lo, exec_lo, s8
	s_wait_loadcnt 0x0
	global_load_b64 v[4:5], v[0:1], off offset:16
	s_wait_loadcnt 0x0
	v_cmp_eq_u64_e32 vcc_lo, 0, v[4:5]
	s_cbranch_vccnz .LBB2_380
; %bb.379:
	global_load_b32 v0, v[0:1], off offset:24
	s_wait_xcnt 0x0
	v_mov_b32_e32 v1, 0
	s_wait_loadcnt 0x0
	v_readfirstlane_b32 s8, v0
	global_wb scope:SCOPE_SYS
	s_wait_storecnt 0x0
	global_store_b64 v[4:5], v[0:1], off scope:SCOPE_SYS
	s_and_b32 m0, s8, 0xffffff
	s_sendmsg sendmsg(MSG_INTERRUPT)
.LBB2_380:
	s_wait_xcnt 0x0
	s_or_b32 exec_lo, exec_lo, s1
	s_branch .LBB2_384
.LBB2_381:                              ;   in Loop: Header=BB2_384 Depth=1
	s_wait_xcnt 0x0
	s_or_b32 exec_lo, exec_lo, s1
	s_delay_alu instid0(VALU_DEP_1)
	v_readfirstlane_b32 s1, v0
	s_cmp_eq_u32 s1, 0
	s_cbranch_scc1 .LBB2_383
; %bb.382:                              ;   in Loop: Header=BB2_384 Depth=1
	s_sleep 1
	s_cbranch_execnz .LBB2_384
	s_branch .LBB2_386
.LBB2_383:
	s_branch .LBB2_386
.LBB2_384:                              ; =>This Inner Loop Header: Depth=1
	v_mov_b32_e32 v0, 1
	s_and_saveexec_b32 s1, s0
	s_cbranch_execz .LBB2_381
; %bb.385:                              ;   in Loop: Header=BB2_384 Depth=1
	global_load_b32 v0, v[10:11], off offset:20 scope:SCOPE_SYS
	s_wait_loadcnt 0x0
	global_inv scope:SCOPE_SYS
	v_and_b32_e32 v0, 1, v0
	s_branch .LBB2_381
.LBB2_386:
	s_and_saveexec_b32 s8, s0
	s_cbranch_execz .LBB2_390
; %bb.387:
	v_mov_b32_e32 v3, 0
	s_clause 0x2
	global_load_b64 v[0:1], v3, s[2:3] offset:40
	global_load_b64 v[8:9], v3, s[2:3] offset:24 scope:SCOPE_SYS
	global_load_b64 v[4:5], v3, s[2:3]
	s_wait_loadcnt 0x2
	v_readfirstlane_b32 s10, v0
	v_readfirstlane_b32 s11, v1
	s_add_nc_u64 s[0:1], s[10:11], 1
	s_delay_alu instid0(SALU_CYCLE_1) | instskip(NEXT) | instid1(SALU_CYCLE_1)
	s_add_nc_u64 s[6:7], s[0:1], s[6:7]
	s_cmp_eq_u64 s[6:7], 0
	s_cselect_b32 s1, s1, s7
	s_cselect_b32 s0, s0, s6
	v_mov_b32_e32 v7, s1
	s_and_b64 s[6:7], s[0:1], s[10:11]
	v_mov_b32_e32 v6, s0
	s_mul_u64 s[6:7], s[6:7], 24
	s_wait_loadcnt 0x0
	v_add_nc_u64_e32 v[0:1], s[6:7], v[4:5]
	global_store_b64 v[0:1], v[8:9], off
	global_wb scope:SCOPE_SYS
	s_wait_storecnt 0x0
	s_wait_xcnt 0x0
	global_atomic_cmpswap_b64 v[6:7], v3, v[6:9], s[2:3] offset:24 th:TH_ATOMIC_RETURN scope:SCOPE_SYS
	s_wait_loadcnt 0x0
	v_cmp_ne_u64_e32 vcc_lo, v[6:7], v[8:9]
	s_and_b32 exec_lo, exec_lo, vcc_lo
	s_cbranch_execz .LBB2_390
; %bb.388:
	s_mov_b32 s6, 0
.LBB2_389:                              ; =>This Inner Loop Header: Depth=1
	v_dual_mov_b32 v4, s0 :: v_dual_mov_b32 v5, s1
	s_sleep 1
	global_store_b64 v[0:1], v[6:7], off
	global_wb scope:SCOPE_SYS
	s_wait_storecnt 0x0
	s_wait_xcnt 0x0
	global_atomic_cmpswap_b64 v[4:5], v3, v[4:7], s[2:3] offset:24 th:TH_ATOMIC_RETURN scope:SCOPE_SYS
	s_wait_loadcnt 0x0
	v_cmp_eq_u64_e32 vcc_lo, v[4:5], v[6:7]
	v_mov_b64_e32 v[6:7], v[4:5]
	s_or_b32 s6, vcc_lo, s6
	s_delay_alu instid0(SALU_CYCLE_1)
	s_and_not1_b32 exec_lo, exec_lo, s6
	s_cbranch_execnz .LBB2_389
.LBB2_390:
	s_or_b32 exec_lo, exec_lo, s8
	v_lshrrev_b32_e32 v0, 1, v36
	s_delay_alu instid0(VALU_DEP_1)
	v_and_b32_e32 v0, 0x7ffffffc, v0
	global_store_b32 v0, v2, s[4:5]
.LBB2_391:
	s_endpgm
.LBB2_392:
	s_cbranch_execz .LBB2_198
	s_branch .LBB2_199
	.section	.rodata,"a",@progbits
	.p2align	6, 0x0
	.amdhsa_kernel _ZL32kernel_cg_group_partition_staticILj8EEvPi19TiledGroupShflTests
		.amdhsa_group_segment_fixed_size 0
		.amdhsa_private_segment_fixed_size 12
		.amdhsa_kernarg_size 272
		.amdhsa_user_sgpr_count 2
		.amdhsa_user_sgpr_dispatch_ptr 0
		.amdhsa_user_sgpr_queue_ptr 0
		.amdhsa_user_sgpr_kernarg_segment_ptr 1
		.amdhsa_user_sgpr_dispatch_id 0
		.amdhsa_user_sgpr_kernarg_preload_length 0
		.amdhsa_user_sgpr_kernarg_preload_offset 0
		.amdhsa_user_sgpr_private_segment_size 0
		.amdhsa_wavefront_size32 1
		.amdhsa_uses_dynamic_stack 0
		.amdhsa_enable_private_segment 1
		.amdhsa_system_sgpr_workgroup_id_x 1
		.amdhsa_system_sgpr_workgroup_id_y 0
		.amdhsa_system_sgpr_workgroup_id_z 0
		.amdhsa_system_sgpr_workgroup_info 0
		.amdhsa_system_vgpr_workitem_id 2
		.amdhsa_next_free_vgpr 37
		.amdhsa_next_free_sgpr 26
		.amdhsa_named_barrier_count 0
		.amdhsa_reserve_vcc 1
		.amdhsa_float_round_mode_32 0
		.amdhsa_float_round_mode_16_64 0
		.amdhsa_float_denorm_mode_32 3
		.amdhsa_float_denorm_mode_16_64 3
		.amdhsa_fp16_overflow 0
		.amdhsa_memory_ordered 1
		.amdhsa_forward_progress 1
		.amdhsa_inst_pref_size 137
		.amdhsa_round_robin_scheduling 0
		.amdhsa_exception_fp_ieee_invalid_op 0
		.amdhsa_exception_fp_denorm_src 0
		.amdhsa_exception_fp_ieee_div_zero 0
		.amdhsa_exception_fp_ieee_overflow 0
		.amdhsa_exception_fp_ieee_underflow 0
		.amdhsa_exception_fp_ieee_inexact 0
		.amdhsa_exception_int_div_zero 0
	.end_amdhsa_kernel
	.section	.text._ZL32kernel_cg_group_partition_staticILj8EEvPi19TiledGroupShflTests,"axG",@progbits,_ZL32kernel_cg_group_partition_staticILj8EEvPi19TiledGroupShflTests,comdat
.Lfunc_end2:
	.size	_ZL32kernel_cg_group_partition_staticILj8EEvPi19TiledGroupShflTests, .Lfunc_end2-_ZL32kernel_cg_group_partition_staticILj8EEvPi19TiledGroupShflTests
                                        ; -- End function
	.set _ZL32kernel_cg_group_partition_staticILj8EEvPi19TiledGroupShflTests.num_vgpr, 37
	.set _ZL32kernel_cg_group_partition_staticILj8EEvPi19TiledGroupShflTests.num_agpr, 0
	.set _ZL32kernel_cg_group_partition_staticILj8EEvPi19TiledGroupShflTests.numbered_sgpr, 26
	.set _ZL32kernel_cg_group_partition_staticILj8EEvPi19TiledGroupShflTests.num_named_barrier, 0
	.set _ZL32kernel_cg_group_partition_staticILj8EEvPi19TiledGroupShflTests.private_seg_size, 12
	.set _ZL32kernel_cg_group_partition_staticILj8EEvPi19TiledGroupShflTests.uses_vcc, 1
	.set _ZL32kernel_cg_group_partition_staticILj8EEvPi19TiledGroupShflTests.uses_flat_scratch, 0
	.set _ZL32kernel_cg_group_partition_staticILj8EEvPi19TiledGroupShflTests.has_dyn_sized_stack, 0
	.set _ZL32kernel_cg_group_partition_staticILj8EEvPi19TiledGroupShflTests.has_recursion, 0
	.set _ZL32kernel_cg_group_partition_staticILj8EEvPi19TiledGroupShflTests.has_indirect_call, 0
	.section	.AMDGPU.csdata,"",@progbits
; Kernel info:
; codeLenInByte = 17524
; TotalNumSgprs: 28
; NumVgprs: 37
; ScratchSize: 12
; MemoryBound: 0
; FloatMode: 240
; IeeeMode: 1
; LDSByteSize: 0 bytes/workgroup (compile time only)
; SGPRBlocks: 0
; VGPRBlocks: 2
; NumSGPRsForWavesPerEU: 28
; NumVGPRsForWavesPerEU: 37
; NamedBarCnt: 0
; Occupancy: 16
; WaveLimiterHint : 1
; COMPUTE_PGM_RSRC2:SCRATCH_EN: 1
; COMPUTE_PGM_RSRC2:USER_SGPR: 2
; COMPUTE_PGM_RSRC2:TRAP_HANDLER: 0
; COMPUTE_PGM_RSRC2:TGID_X_EN: 1
; COMPUTE_PGM_RSRC2:TGID_Y_EN: 0
; COMPUTE_PGM_RSRC2:TGID_Z_EN: 0
; COMPUTE_PGM_RSRC2:TIDIG_COMP_CNT: 2
	.section	.text._ZL32kernel_cg_group_partition_staticILj16EEvPi19TiledGroupShflTests,"axG",@progbits,_ZL32kernel_cg_group_partition_staticILj16EEvPi19TiledGroupShflTests,comdat
	.globl	_ZL32kernel_cg_group_partition_staticILj16EEvPi19TiledGroupShflTests ; -- Begin function _ZL32kernel_cg_group_partition_staticILj16EEvPi19TiledGroupShflTests
	.p2align	8
	.type	_ZL32kernel_cg_group_partition_staticILj16EEvPi19TiledGroupShflTests,@function
_ZL32kernel_cg_group_partition_staticILj16EEvPi19TiledGroupShflTests: ; @_ZL32kernel_cg_group_partition_staticILj16EEvPi19TiledGroupShflTests
; %bb.0:
	s_load_b32 s2, s[0:1], 0x1c
	v_bfe_u32 v1, v0, 10, 10
	v_bfe_u32 v2, v0, 20, 10
	v_and_b32_e32 v0, 0x3ff, v0
	s_add_nc_u64 s[8:9], s[0:1], 16
	s_mov_b32 s18, exec_lo
	s_wait_kmcnt 0x0
	s_lshr_b32 s19, s2, 16
	s_and_b32 s20, s2, 0xffff
	v_mad_u32_u24 v1, v2, s19, v1
	s_delay_alu instid0(VALU_DEP_1) | instskip(NEXT) | instid1(VALU_DEP_1)
	v_mad_u32 v36, v1, s20, v0
	v_cmpx_eq_u32_e32 0, v36
	s_cbranch_execz .LBB3_186
; %bb.1:
	s_clause 0x1
	s_load_b32 s21, s[8:9], 0x10
	s_load_b64 s[4:5], s[8:9], 0x50
	v_mbcnt_lo_u32_b32 v29, -1, 0
	v_mov_b64_e32 v[2:3], 0
	s_delay_alu instid0(VALU_DEP_2) | instskip(NEXT) | instid1(VALU_DEP_1)
	v_readfirstlane_b32 s2, v29
	v_cmp_eq_u32_e64 s2, s2, v29
	s_and_saveexec_b32 s3, s2
	s_cbranch_execz .LBB3_7
; %bb.2:
	v_mov_b32_e32 v0, 0
	s_mov_b32 s6, exec_lo
	s_wait_kmcnt 0x0
	global_load_b64 v[4:5], v0, s[4:5] offset:24 scope:SCOPE_SYS
	s_wait_loadcnt 0x0
	global_inv scope:SCOPE_SYS
	s_clause 0x1
	global_load_b64 v[2:3], v0, s[4:5] offset:40
	global_load_b64 v[6:7], v0, s[4:5]
	s_wait_loadcnt 0x1
	v_and_b32_e32 v2, v2, v4
	v_and_b32_e32 v3, v3, v5
	s_delay_alu instid0(VALU_DEP_1) | instskip(SKIP_1) | instid1(VALU_DEP_1)
	v_mul_u64_e32 v[2:3], 24, v[2:3]
	s_wait_loadcnt 0x0
	v_add_nc_u64_e32 v[2:3], v[6:7], v[2:3]
	global_load_b64 v[2:3], v[2:3], off scope:SCOPE_SYS
	s_wait_xcnt 0x0
	s_wait_loadcnt 0x0
	global_atomic_cmpswap_b64 v[2:3], v0, v[2:5], s[4:5] offset:24 th:TH_ATOMIC_RETURN scope:SCOPE_SYS
	s_wait_loadcnt 0x0
	global_inv scope:SCOPE_SYS
	s_wait_xcnt 0x0
	v_cmpx_ne_u64_e64 v[2:3], v[4:5]
	s_cbranch_execz .LBB3_6
; %bb.3:
	s_mov_b32 s7, 0
.LBB3_4:                                ; =>This Inner Loop Header: Depth=1
	s_sleep 1
	s_clause 0x1
	global_load_b64 v[6:7], v0, s[4:5] offset:40
	global_load_b64 v[8:9], v0, s[4:5]
	v_mov_b64_e32 v[4:5], v[2:3]
	s_wait_loadcnt 0x1
	s_delay_alu instid0(VALU_DEP_1) | instskip(SKIP_1) | instid1(VALU_DEP_1)
	v_and_b32_e32 v1, v6, v4
	s_wait_loadcnt 0x0
	v_mad_nc_u64_u32 v[2:3], v1, 24, v[8:9]
	s_delay_alu instid0(VALU_DEP_3) | instskip(NEXT) | instid1(VALU_DEP_1)
	v_and_b32_e32 v1, v7, v5
	v_mad_u32 v3, v1, 24, v3
	global_load_b64 v[2:3], v[2:3], off scope:SCOPE_SYS
	s_wait_xcnt 0x0
	s_wait_loadcnt 0x0
	global_atomic_cmpswap_b64 v[2:3], v0, v[2:5], s[4:5] offset:24 th:TH_ATOMIC_RETURN scope:SCOPE_SYS
	s_wait_loadcnt 0x0
	global_inv scope:SCOPE_SYS
	v_cmp_eq_u64_e32 vcc_lo, v[2:3], v[4:5]
	s_or_b32 s7, vcc_lo, s7
	s_wait_xcnt 0x0
	s_and_not1_b32 exec_lo, exec_lo, s7
	s_cbranch_execnz .LBB3_4
; %bb.5:
	s_or_b32 exec_lo, exec_lo, s7
.LBB3_6:
	s_delay_alu instid0(SALU_CYCLE_1)
	s_or_b32 exec_lo, exec_lo, s6
.LBB3_7:
	s_delay_alu instid0(SALU_CYCLE_1)
	s_or_b32 exec_lo, exec_lo, s3
	v_readfirstlane_b32 s6, v2
	v_mov_b32_e32 v1, 0
	v_readfirstlane_b32 s7, v3
	s_mov_b32 s3, exec_lo
	s_wait_kmcnt 0x0
	s_clause 0x1
	global_load_b64 v[8:9], v1, s[4:5] offset:40
	global_load_b128 v[4:7], v1, s[4:5]
	s_wait_loadcnt 0x1
	v_and_b32_e32 v10, s6, v8
	v_and_b32_e32 v11, s7, v9
	s_delay_alu instid0(VALU_DEP_1) | instskip(SKIP_1) | instid1(VALU_DEP_1)
	v_mul_u64_e32 v[2:3], 24, v[10:11]
	s_wait_loadcnt 0x0
	v_add_nc_u64_e32 v[8:9], v[4:5], v[2:3]
	s_and_saveexec_b32 s10, s2
	s_cbranch_execz .LBB3_9
; %bb.8:
	v_mov_b64_e32 v[2:3], 0x100000002
	v_mov_b32_e32 v0, s3
	global_store_b128 v[8:9], v[0:3], off offset:8
.LBB3_9:
	s_wait_xcnt 0x0
	s_or_b32 exec_lo, exec_lo, s10
	v_lshlrev_b64_e32 v[2:3], 12, v[10:11]
	s_mov_b32 s12, 0
	v_dual_lshlrev_b32 v0, 6, v29 :: v_dual_mov_b32 v10, 33
	s_mov_b32 s14, s12
	s_mov_b32 s15, s12
	;; [unrolled: 1-line block ×3, first 2 shown]
	s_delay_alu instid0(VALU_DEP_2)
	v_add_nc_u64_e32 v[6:7], v[6:7], v[2:3]
	v_mov_b64_e32 v[16:17], s[14:15]
	v_mov_b64_e32 v[14:15], s[12:13]
	v_dual_mov_b32 v11, v1 :: v_dual_mov_b32 v12, v1
	v_mov_b32_e32 v13, v1
	v_readfirstlane_b32 s10, v6
	v_readfirstlane_b32 s11, v7
	s_clause 0x3
	global_store_b128 v0, v[10:13], s[10:11]
	global_store_b128 v0, v[14:17], s[10:11] offset:16
	global_store_b128 v0, v[14:17], s[10:11] offset:32
	global_store_b128 v0, v[14:17], s[10:11] offset:48
	s_wait_xcnt 0x0
	s_and_saveexec_b32 s3, s2
	s_cbranch_execz .LBB3_17
; %bb.10:
	v_dual_mov_b32 v12, 0 :: v_dual_mov_b32 v15, s7
	s_mov_b32 s10, exec_lo
	s_clause 0x1
	global_load_b64 v[16:17], v12, s[4:5] offset:32 scope:SCOPE_SYS
	global_load_b64 v[2:3], v12, s[4:5] offset:40
	s_wait_loadcnt 0x0
	v_dual_mov_b32 v14, s6 :: v_dual_bitop2_b32 v3, s7, v3 bitop3:0x40
	v_and_b32_e32 v2, s6, v2
	s_delay_alu instid0(VALU_DEP_1) | instskip(NEXT) | instid1(VALU_DEP_1)
	v_mul_u64_e32 v[2:3], 24, v[2:3]
	v_add_nc_u64_e32 v[10:11], v[4:5], v[2:3]
	global_store_b64 v[10:11], v[16:17], off
	global_wb scope:SCOPE_SYS
	s_wait_storecnt 0x0
	s_wait_xcnt 0x0
	global_atomic_cmpswap_b64 v[4:5], v12, v[14:17], s[4:5] offset:32 th:TH_ATOMIC_RETURN scope:SCOPE_SYS
	s_wait_loadcnt 0x0
	v_cmpx_ne_u64_e64 v[4:5], v[16:17]
	s_cbranch_execz .LBB3_13
; %bb.11:
	s_mov_b32 s11, 0
.LBB3_12:                               ; =>This Inner Loop Header: Depth=1
	v_dual_mov_b32 v2, s6 :: v_dual_mov_b32 v3, s7
	s_sleep 1
	global_store_b64 v[10:11], v[4:5], off
	global_wb scope:SCOPE_SYS
	s_wait_storecnt 0x0
	s_wait_xcnt 0x0
	global_atomic_cmpswap_b64 v[2:3], v12, v[2:5], s[4:5] offset:32 th:TH_ATOMIC_RETURN scope:SCOPE_SYS
	s_wait_loadcnt 0x0
	v_cmp_eq_u64_e32 vcc_lo, v[2:3], v[4:5]
	v_mov_b64_e32 v[4:5], v[2:3]
	s_or_b32 s11, vcc_lo, s11
	s_delay_alu instid0(SALU_CYCLE_1)
	s_and_not1_b32 exec_lo, exec_lo, s11
	s_cbranch_execnz .LBB3_12
.LBB3_13:
	s_or_b32 exec_lo, exec_lo, s10
	v_mov_b32_e32 v5, 0
	s_mov_b32 s11, exec_lo
	s_mov_b32 s10, exec_lo
	v_mbcnt_lo_u32_b32 v4, s11, 0
	global_load_b64 v[2:3], v5, s[4:5] offset:16
	s_wait_xcnt 0x0
	v_cmpx_eq_u32_e32 0, v4
	s_cbranch_execz .LBB3_15
; %bb.14:
	s_bcnt1_i32_b32 s11, s11
	s_delay_alu instid0(SALU_CYCLE_1)
	v_mov_b32_e32 v4, s11
	global_wb scope:SCOPE_SYS
	s_wait_loadcnt 0x0
	s_wait_storecnt 0x0
	global_atomic_add_u64 v[2:3], v[4:5], off offset:8 scope:SCOPE_SYS
.LBB3_15:
	s_wait_xcnt 0x0
	s_or_b32 exec_lo, exec_lo, s10
	s_wait_loadcnt 0x0
	global_load_b64 v[4:5], v[2:3], off offset:16
	s_wait_loadcnt 0x0
	v_cmp_eq_u64_e32 vcc_lo, 0, v[4:5]
	s_cbranch_vccnz .LBB3_17
; %bb.16:
	global_load_b32 v2, v[2:3], off offset:24
	s_wait_xcnt 0x0
	v_mov_b32_e32 v3, 0
	s_wait_loadcnt 0x0
	v_readfirstlane_b32 s10, v2
	global_wb scope:SCOPE_SYS
	s_wait_storecnt 0x0
	global_store_b64 v[4:5], v[2:3], off scope:SCOPE_SYS
	s_and_b32 m0, s10, 0xffffff
	s_sendmsg sendmsg(MSG_INTERRUPT)
.LBB3_17:
	s_wait_xcnt 0x0
	s_or_b32 exec_lo, exec_lo, s3
	v_add_nc_u64_e32 v[2:3], v[6:7], v[0:1]
	s_branch .LBB3_21
.LBB3_18:                               ;   in Loop: Header=BB3_21 Depth=1
	s_wait_xcnt 0x0
	s_or_b32 exec_lo, exec_lo, s3
	s_delay_alu instid0(VALU_DEP_1)
	v_readfirstlane_b32 s3, v1
	s_cmp_eq_u32 s3, 0
	s_cbranch_scc1 .LBB3_20
; %bb.19:                               ;   in Loop: Header=BB3_21 Depth=1
	s_sleep 1
	s_cbranch_execnz .LBB3_21
	s_branch .LBB3_23
.LBB3_20:
	s_branch .LBB3_23
.LBB3_21:                               ; =>This Inner Loop Header: Depth=1
	v_mov_b32_e32 v1, 1
	s_and_saveexec_b32 s3, s2
	s_cbranch_execz .LBB3_18
; %bb.22:                               ;   in Loop: Header=BB3_21 Depth=1
	global_load_b32 v1, v[8:9], off offset:20 scope:SCOPE_SYS
	s_wait_loadcnt 0x0
	global_inv scope:SCOPE_SYS
	v_and_b32_e32 v1, 1, v1
	s_branch .LBB3_18
.LBB3_23:
	global_load_b64 v[2:3], v[2:3], off
	s_wait_xcnt 0x0
	s_and_saveexec_b32 s10, s2
	s_cbranch_execz .LBB3_27
; %bb.24:
	v_mov_b32_e32 v1, 0
	s_clause 0x2
	global_load_b64 v[4:5], v1, s[4:5] offset:40
	global_load_b64 v[12:13], v1, s[4:5] offset:24 scope:SCOPE_SYS
	global_load_b64 v[6:7], v1, s[4:5]
	s_wait_loadcnt 0x2
	v_readfirstlane_b32 s12, v4
	v_readfirstlane_b32 s13, v5
	s_add_nc_u64 s[2:3], s[12:13], 1
	s_delay_alu instid0(SALU_CYCLE_1) | instskip(NEXT) | instid1(SALU_CYCLE_1)
	s_add_nc_u64 s[6:7], s[2:3], s[6:7]
	s_cmp_eq_u64 s[6:7], 0
	s_cselect_b32 s3, s3, s7
	s_cselect_b32 s2, s2, s6
	v_mov_b32_e32 v11, s3
	s_and_b64 s[6:7], s[2:3], s[12:13]
	v_mov_b32_e32 v10, s2
	s_mul_u64 s[6:7], s[6:7], 24
	s_wait_loadcnt 0x0
	v_add_nc_u64_e32 v[8:9], s[6:7], v[6:7]
	global_store_b64 v[8:9], v[12:13], off
	global_wb scope:SCOPE_SYS
	s_wait_storecnt 0x0
	s_wait_xcnt 0x0
	global_atomic_cmpswap_b64 v[6:7], v1, v[10:13], s[4:5] offset:24 th:TH_ATOMIC_RETURN scope:SCOPE_SYS
	s_wait_loadcnt 0x0
	v_cmp_ne_u64_e32 vcc_lo, v[6:7], v[12:13]
	s_and_b32 exec_lo, exec_lo, vcc_lo
	s_cbranch_execz .LBB3_27
; %bb.25:
	s_mov_b32 s6, 0
.LBB3_26:                               ; =>This Inner Loop Header: Depth=1
	v_dual_mov_b32 v4, s2 :: v_dual_mov_b32 v5, s3
	s_sleep 1
	global_store_b64 v[8:9], v[6:7], off
	global_wb scope:SCOPE_SYS
	s_wait_storecnt 0x0
	s_wait_xcnt 0x0
	global_atomic_cmpswap_b64 v[4:5], v1, v[4:7], s[4:5] offset:24 th:TH_ATOMIC_RETURN scope:SCOPE_SYS
	s_wait_loadcnt 0x0
	v_cmp_eq_u64_e32 vcc_lo, v[4:5], v[6:7]
	v_mov_b64_e32 v[6:7], v[4:5]
	s_or_b32 s6, vcc_lo, s6
	s_delay_alu instid0(SALU_CYCLE_1)
	s_and_not1_b32 exec_lo, exec_lo, s6
	s_cbranch_execnz .LBB3_26
.LBB3_27:
	s_or_b32 exec_lo, exec_lo, s10
	s_get_pc_i64 s[6:7]
	s_add_nc_u64 s[6:7], s[6:7], .str@rel64+4
	s_delay_alu instid0(SALU_CYCLE_1)
	s_cmp_lg_u64 s[6:7], 0
	s_cbranch_scc0 .LBB3_106
; %bb.28:
	v_mov_b64_e32 v[10:11], 0x100000002
	s_wait_loadcnt 0x0
	v_dual_mov_b32 v9, 0 :: v_dual_bitop2_b32 v28, 2, v2 bitop3:0x40
	v_dual_mov_b32 v5, v3 :: v_dual_bitop2_b32 v4, -3, v2 bitop3:0x40
	s_mov_b64 s[10:11], 48
	s_branch .LBB3_30
.LBB3_29:                               ;   in Loop: Header=BB3_30 Depth=1
	s_or_b32 exec_lo, exec_lo, s16
	s_sub_nc_u64 s[10:11], s[10:11], s[12:13]
	s_add_nc_u64 s[6:7], s[6:7], s[12:13]
	s_cmp_lg_u64 s[10:11], 0
	s_cbranch_scc0 .LBB3_105
.LBB3_30:                               ; =>This Loop Header: Depth=1
                                        ;     Child Loop BB3_33 Depth 2
                                        ;     Child Loop BB3_40 Depth 2
	;; [unrolled: 1-line block ×11, first 2 shown]
	v_min_u64 v[6:7], s[10:11], 56
	v_cmp_gt_u64_e64 s2, s[10:11], 7
	s_and_b32 vcc_lo, exec_lo, s2
	v_readfirstlane_b32 s12, v6
	v_readfirstlane_b32 s13, v7
	s_cbranch_vccnz .LBB3_35
; %bb.31:                               ;   in Loop: Header=BB3_30 Depth=1
	v_mov_b64_e32 v[6:7], 0
	s_cmp_eq_u64 s[10:11], 0
	s_cbranch_scc1 .LBB3_34
; %bb.32:                               ;   in Loop: Header=BB3_30 Depth=1
	s_mov_b64 s[2:3], 0
	s_mov_b64 s[14:15], 0
.LBB3_33:                               ;   Parent Loop BB3_30 Depth=1
                                        ; =>  This Inner Loop Header: Depth=2
	s_wait_xcnt 0x0
	s_add_nc_u64 s[16:17], s[6:7], s[14:15]
	s_add_nc_u64 s[14:15], s[14:15], 1
	global_load_u8 v1, v9, s[16:17]
	s_cmp_lg_u32 s12, s14
	s_wait_loadcnt 0x0
	v_and_b32_e32 v8, 0xffff, v1
	s_delay_alu instid0(VALU_DEP_1) | instskip(SKIP_1) | instid1(VALU_DEP_1)
	v_lshlrev_b64_e32 v[12:13], s2, v[8:9]
	s_add_nc_u64 s[2:3], s[2:3], 8
	v_or_b32_e32 v6, v12, v6
	s_delay_alu instid0(VALU_DEP_2)
	v_or_b32_e32 v7, v13, v7
	s_cbranch_scc1 .LBB3_33
.LBB3_34:                               ;   in Loop: Header=BB3_30 Depth=1
	s_mov_b64 s[14:15], s[6:7]
	s_mov_b32 s22, 0
	s_cbranch_execz .LBB3_36
	s_branch .LBB3_37
.LBB3_35:                               ;   in Loop: Header=BB3_30 Depth=1
	s_add_nc_u64 s[14:15], s[6:7], 8
	s_mov_b32 s22, 0
.LBB3_36:                               ;   in Loop: Header=BB3_30 Depth=1
	global_load_b64 v[6:7], v9, s[6:7]
	s_add_co_i32 s22, s12, -8
.LBB3_37:                               ;   in Loop: Header=BB3_30 Depth=1
	s_delay_alu instid0(SALU_CYCLE_1)
	s_cmp_gt_u32 s22, 7
	s_cbranch_scc1 .LBB3_42
; %bb.38:                               ;   in Loop: Header=BB3_30 Depth=1
	v_mov_b64_e32 v[12:13], 0
	s_cmp_eq_u32 s22, 0
	s_cbranch_scc1 .LBB3_41
; %bb.39:                               ;   in Loop: Header=BB3_30 Depth=1
	s_mov_b64 s[2:3], 0
	s_wait_xcnt 0x0
	s_mov_b64 s[16:17], 0
.LBB3_40:                               ;   Parent Loop BB3_30 Depth=1
                                        ; =>  This Inner Loop Header: Depth=2
	s_wait_xcnt 0x0
	s_add_nc_u64 s[24:25], s[14:15], s[16:17]
	s_add_nc_u64 s[16:17], s[16:17], 1
	global_load_u8 v1, v9, s[24:25]
	s_cmp_lg_u32 s22, s16
	s_wait_loadcnt 0x0
	v_and_b32_e32 v8, 0xffff, v1
	s_delay_alu instid0(VALU_DEP_1) | instskip(SKIP_1) | instid1(VALU_DEP_1)
	v_lshlrev_b64_e32 v[14:15], s2, v[8:9]
	s_add_nc_u64 s[2:3], s[2:3], 8
	v_or_b32_e32 v12, v14, v12
	s_delay_alu instid0(VALU_DEP_2)
	v_or_b32_e32 v13, v15, v13
	s_cbranch_scc1 .LBB3_40
.LBB3_41:                               ;   in Loop: Header=BB3_30 Depth=1
	s_wait_xcnt 0x0
	s_mov_b64 s[2:3], s[14:15]
	s_mov_b32 s23, 0
	s_cbranch_execz .LBB3_43
	s_branch .LBB3_44
.LBB3_42:                               ;   in Loop: Header=BB3_30 Depth=1
	s_add_nc_u64 s[2:3], s[14:15], 8
	s_wait_xcnt 0x0
                                        ; implicit-def: $vgpr12_vgpr13
	s_mov_b32 s23, 0
.LBB3_43:                               ;   in Loop: Header=BB3_30 Depth=1
	global_load_b64 v[12:13], v9, s[14:15]
	s_add_co_i32 s23, s22, -8
.LBB3_44:                               ;   in Loop: Header=BB3_30 Depth=1
	s_delay_alu instid0(SALU_CYCLE_1)
	s_cmp_gt_u32 s23, 7
	s_cbranch_scc1 .LBB3_49
; %bb.45:                               ;   in Loop: Header=BB3_30 Depth=1
	v_mov_b64_e32 v[14:15], 0
	s_cmp_eq_u32 s23, 0
	s_cbranch_scc1 .LBB3_48
; %bb.46:                               ;   in Loop: Header=BB3_30 Depth=1
	s_wait_xcnt 0x0
	s_mov_b64 s[14:15], 0
	s_mov_b64 s[16:17], 0
.LBB3_47:                               ;   Parent Loop BB3_30 Depth=1
                                        ; =>  This Inner Loop Header: Depth=2
	s_wait_xcnt 0x0
	s_add_nc_u64 s[24:25], s[2:3], s[16:17]
	s_add_nc_u64 s[16:17], s[16:17], 1
	global_load_u8 v1, v9, s[24:25]
	s_cmp_lg_u32 s23, s16
	s_wait_loadcnt 0x0
	v_and_b32_e32 v8, 0xffff, v1
	s_delay_alu instid0(VALU_DEP_1) | instskip(SKIP_1) | instid1(VALU_DEP_1)
	v_lshlrev_b64_e32 v[16:17], s14, v[8:9]
	s_add_nc_u64 s[14:15], s[14:15], 8
	v_or_b32_e32 v14, v16, v14
	s_delay_alu instid0(VALU_DEP_2)
	v_or_b32_e32 v15, v17, v15
	s_cbranch_scc1 .LBB3_47
.LBB3_48:                               ;   in Loop: Header=BB3_30 Depth=1
	s_wait_xcnt 0x0
	s_mov_b64 s[14:15], s[2:3]
	s_mov_b32 s22, 0
	s_cbranch_execz .LBB3_50
	s_branch .LBB3_51
.LBB3_49:                               ;   in Loop: Header=BB3_30 Depth=1
	s_wait_xcnt 0x0
	s_add_nc_u64 s[14:15], s[2:3], 8
	s_mov_b32 s22, 0
.LBB3_50:                               ;   in Loop: Header=BB3_30 Depth=1
	global_load_b64 v[14:15], v9, s[2:3]
	s_add_co_i32 s22, s23, -8
.LBB3_51:                               ;   in Loop: Header=BB3_30 Depth=1
	s_delay_alu instid0(SALU_CYCLE_1)
	s_cmp_gt_u32 s22, 7
	s_cbranch_scc1 .LBB3_56
; %bb.52:                               ;   in Loop: Header=BB3_30 Depth=1
	v_mov_b64_e32 v[16:17], 0
	s_cmp_eq_u32 s22, 0
	s_cbranch_scc1 .LBB3_55
; %bb.53:                               ;   in Loop: Header=BB3_30 Depth=1
	s_wait_xcnt 0x0
	s_mov_b64 s[2:3], 0
	s_mov_b64 s[16:17], 0
.LBB3_54:                               ;   Parent Loop BB3_30 Depth=1
                                        ; =>  This Inner Loop Header: Depth=2
	s_wait_xcnt 0x0
	s_add_nc_u64 s[24:25], s[14:15], s[16:17]
	s_add_nc_u64 s[16:17], s[16:17], 1
	global_load_u8 v1, v9, s[24:25]
	s_cmp_lg_u32 s22, s16
	s_wait_loadcnt 0x0
	v_and_b32_e32 v8, 0xffff, v1
	s_delay_alu instid0(VALU_DEP_1) | instskip(SKIP_1) | instid1(VALU_DEP_1)
	v_lshlrev_b64_e32 v[18:19], s2, v[8:9]
	s_add_nc_u64 s[2:3], s[2:3], 8
	v_or_b32_e32 v16, v18, v16
	s_delay_alu instid0(VALU_DEP_2)
	v_or_b32_e32 v17, v19, v17
	s_cbranch_scc1 .LBB3_54
.LBB3_55:                               ;   in Loop: Header=BB3_30 Depth=1
	s_wait_xcnt 0x0
	s_mov_b64 s[2:3], s[14:15]
	s_mov_b32 s23, 0
	s_cbranch_execz .LBB3_57
	s_branch .LBB3_58
.LBB3_56:                               ;   in Loop: Header=BB3_30 Depth=1
	s_wait_xcnt 0x0
	s_add_nc_u64 s[2:3], s[14:15], 8
                                        ; implicit-def: $vgpr16_vgpr17
	s_mov_b32 s23, 0
.LBB3_57:                               ;   in Loop: Header=BB3_30 Depth=1
	global_load_b64 v[16:17], v9, s[14:15]
	s_add_co_i32 s23, s22, -8
.LBB3_58:                               ;   in Loop: Header=BB3_30 Depth=1
	s_delay_alu instid0(SALU_CYCLE_1)
	s_cmp_gt_u32 s23, 7
	s_cbranch_scc1 .LBB3_63
; %bb.59:                               ;   in Loop: Header=BB3_30 Depth=1
	v_mov_b64_e32 v[18:19], 0
	s_cmp_eq_u32 s23, 0
	s_cbranch_scc1 .LBB3_62
; %bb.60:                               ;   in Loop: Header=BB3_30 Depth=1
	s_wait_xcnt 0x0
	s_mov_b64 s[14:15], 0
	s_mov_b64 s[16:17], 0
.LBB3_61:                               ;   Parent Loop BB3_30 Depth=1
                                        ; =>  This Inner Loop Header: Depth=2
	s_wait_xcnt 0x0
	s_add_nc_u64 s[24:25], s[2:3], s[16:17]
	s_add_nc_u64 s[16:17], s[16:17], 1
	global_load_u8 v1, v9, s[24:25]
	s_cmp_lg_u32 s23, s16
	s_wait_loadcnt 0x0
	v_and_b32_e32 v8, 0xffff, v1
	s_delay_alu instid0(VALU_DEP_1) | instskip(SKIP_1) | instid1(VALU_DEP_1)
	v_lshlrev_b64_e32 v[20:21], s14, v[8:9]
	s_add_nc_u64 s[14:15], s[14:15], 8
	v_or_b32_e32 v18, v20, v18
	s_delay_alu instid0(VALU_DEP_2)
	v_or_b32_e32 v19, v21, v19
	s_cbranch_scc1 .LBB3_61
.LBB3_62:                               ;   in Loop: Header=BB3_30 Depth=1
	s_wait_xcnt 0x0
	s_mov_b64 s[14:15], s[2:3]
	s_mov_b32 s22, 0
	s_cbranch_execz .LBB3_64
	s_branch .LBB3_65
.LBB3_63:                               ;   in Loop: Header=BB3_30 Depth=1
	s_wait_xcnt 0x0
	s_add_nc_u64 s[14:15], s[2:3], 8
	s_mov_b32 s22, 0
.LBB3_64:                               ;   in Loop: Header=BB3_30 Depth=1
	global_load_b64 v[18:19], v9, s[2:3]
	s_add_co_i32 s22, s23, -8
.LBB3_65:                               ;   in Loop: Header=BB3_30 Depth=1
	s_delay_alu instid0(SALU_CYCLE_1)
	s_cmp_gt_u32 s22, 7
	s_cbranch_scc1 .LBB3_70
; %bb.66:                               ;   in Loop: Header=BB3_30 Depth=1
	v_mov_b64_e32 v[20:21], 0
	s_cmp_eq_u32 s22, 0
	s_cbranch_scc1 .LBB3_69
; %bb.67:                               ;   in Loop: Header=BB3_30 Depth=1
	s_wait_xcnt 0x0
	s_mov_b64 s[2:3], 0
	s_mov_b64 s[16:17], 0
.LBB3_68:                               ;   Parent Loop BB3_30 Depth=1
                                        ; =>  This Inner Loop Header: Depth=2
	s_wait_xcnt 0x0
	s_add_nc_u64 s[24:25], s[14:15], s[16:17]
	s_add_nc_u64 s[16:17], s[16:17], 1
	global_load_u8 v1, v9, s[24:25]
	s_cmp_lg_u32 s22, s16
	s_wait_loadcnt 0x0
	v_and_b32_e32 v8, 0xffff, v1
	s_delay_alu instid0(VALU_DEP_1) | instskip(SKIP_1) | instid1(VALU_DEP_1)
	v_lshlrev_b64_e32 v[22:23], s2, v[8:9]
	s_add_nc_u64 s[2:3], s[2:3], 8
	v_or_b32_e32 v20, v22, v20
	s_delay_alu instid0(VALU_DEP_2)
	v_or_b32_e32 v21, v23, v21
	s_cbranch_scc1 .LBB3_68
.LBB3_69:                               ;   in Loop: Header=BB3_30 Depth=1
	s_wait_xcnt 0x0
	s_mov_b64 s[2:3], s[14:15]
	s_mov_b32 s23, 0
	s_cbranch_execz .LBB3_71
	s_branch .LBB3_72
.LBB3_70:                               ;   in Loop: Header=BB3_30 Depth=1
	s_wait_xcnt 0x0
	s_add_nc_u64 s[2:3], s[14:15], 8
                                        ; implicit-def: $vgpr20_vgpr21
	s_mov_b32 s23, 0
.LBB3_71:                               ;   in Loop: Header=BB3_30 Depth=1
	global_load_b64 v[20:21], v9, s[14:15]
	s_add_co_i32 s23, s22, -8
.LBB3_72:                               ;   in Loop: Header=BB3_30 Depth=1
	s_delay_alu instid0(SALU_CYCLE_1)
	s_cmp_gt_u32 s23, 7
	s_cbranch_scc1 .LBB3_77
; %bb.73:                               ;   in Loop: Header=BB3_30 Depth=1
	v_mov_b64_e32 v[22:23], 0
	s_cmp_eq_u32 s23, 0
	s_cbranch_scc1 .LBB3_76
; %bb.74:                               ;   in Loop: Header=BB3_30 Depth=1
	s_wait_xcnt 0x0
	s_mov_b64 s[14:15], 0
	s_mov_b64 s[16:17], s[2:3]
.LBB3_75:                               ;   Parent Loop BB3_30 Depth=1
                                        ; =>  This Inner Loop Header: Depth=2
	global_load_u8 v1, v9, s[16:17]
	s_add_co_i32 s23, s23, -1
	s_wait_xcnt 0x0
	s_add_nc_u64 s[16:17], s[16:17], 1
	s_cmp_lg_u32 s23, 0
	s_wait_loadcnt 0x0
	v_and_b32_e32 v8, 0xffff, v1
	s_delay_alu instid0(VALU_DEP_1) | instskip(SKIP_1) | instid1(VALU_DEP_1)
	v_lshlrev_b64_e32 v[24:25], s14, v[8:9]
	s_add_nc_u64 s[14:15], s[14:15], 8
	v_or_b32_e32 v22, v24, v22
	s_delay_alu instid0(VALU_DEP_2)
	v_or_b32_e32 v23, v25, v23
	s_cbranch_scc1 .LBB3_75
.LBB3_76:                               ;   in Loop: Header=BB3_30 Depth=1
	s_wait_xcnt 0x0
	s_cbranch_execz .LBB3_78
	s_branch .LBB3_79
.LBB3_77:                               ;   in Loop: Header=BB3_30 Depth=1
	s_wait_xcnt 0x0
.LBB3_78:                               ;   in Loop: Header=BB3_30 Depth=1
	global_load_b64 v[22:23], v9, s[2:3]
.LBB3_79:                               ;   in Loop: Header=BB3_30 Depth=1
	s_wait_xcnt 0x0
	v_readfirstlane_b32 s2, v29
	v_mov_b64_e32 v[30:31], 0
	s_delay_alu instid0(VALU_DEP_2)
	v_cmp_eq_u32_e64 s2, s2, v29
	s_and_saveexec_b32 s3, s2
	s_cbranch_execz .LBB3_85
; %bb.80:                               ;   in Loop: Header=BB3_30 Depth=1
	global_load_b64 v[26:27], v9, s[4:5] offset:24 scope:SCOPE_SYS
	s_wait_loadcnt 0x0
	global_inv scope:SCOPE_SYS
	s_clause 0x1
	global_load_b64 v[24:25], v9, s[4:5] offset:40
	global_load_b64 v[30:31], v9, s[4:5]
	s_mov_b32 s14, exec_lo
	s_wait_loadcnt 0x1
	v_and_b32_e32 v24, v24, v26
	v_and_b32_e32 v25, v25, v27
	s_delay_alu instid0(VALU_DEP_1) | instskip(SKIP_1) | instid1(VALU_DEP_1)
	v_mul_u64_e32 v[24:25], 24, v[24:25]
	s_wait_loadcnt 0x0
	v_add_nc_u64_e32 v[24:25], v[30:31], v[24:25]
	global_load_b64 v[24:25], v[24:25], off scope:SCOPE_SYS
	s_wait_xcnt 0x0
	s_wait_loadcnt 0x0
	global_atomic_cmpswap_b64 v[30:31], v9, v[24:27], s[4:5] offset:24 th:TH_ATOMIC_RETURN scope:SCOPE_SYS
	s_wait_loadcnt 0x0
	global_inv scope:SCOPE_SYS
	s_wait_xcnt 0x0
	v_cmpx_ne_u64_e64 v[30:31], v[26:27]
	s_cbranch_execz .LBB3_84
; %bb.81:                               ;   in Loop: Header=BB3_30 Depth=1
	s_mov_b32 s15, 0
.LBB3_82:                               ;   Parent Loop BB3_30 Depth=1
                                        ; =>  This Inner Loop Header: Depth=2
	s_sleep 1
	s_clause 0x1
	global_load_b64 v[24:25], v9, s[4:5] offset:40
	global_load_b64 v[32:33], v9, s[4:5]
	v_mov_b64_e32 v[26:27], v[30:31]
	s_wait_loadcnt 0x1
	s_delay_alu instid0(VALU_DEP_1) | instskip(SKIP_1) | instid1(VALU_DEP_1)
	v_and_b32_e32 v1, v24, v26
	s_wait_loadcnt 0x0
	v_mad_nc_u64_u32 v[30:31], v1, 24, v[32:33]
	s_delay_alu instid0(VALU_DEP_3) | instskip(NEXT) | instid1(VALU_DEP_1)
	v_and_b32_e32 v1, v25, v27
	v_mad_u32 v31, v1, 24, v31
	global_load_b64 v[24:25], v[30:31], off scope:SCOPE_SYS
	s_wait_xcnt 0x0
	s_wait_loadcnt 0x0
	global_atomic_cmpswap_b64 v[30:31], v9, v[24:27], s[4:5] offset:24 th:TH_ATOMIC_RETURN scope:SCOPE_SYS
	s_wait_loadcnt 0x0
	global_inv scope:SCOPE_SYS
	v_cmp_eq_u64_e32 vcc_lo, v[30:31], v[26:27]
	s_or_b32 s15, vcc_lo, s15
	s_wait_xcnt 0x0
	s_and_not1_b32 exec_lo, exec_lo, s15
	s_cbranch_execnz .LBB3_82
; %bb.83:                               ;   in Loop: Header=BB3_30 Depth=1
	s_or_b32 exec_lo, exec_lo, s15
.LBB3_84:                               ;   in Loop: Header=BB3_30 Depth=1
	s_delay_alu instid0(SALU_CYCLE_1)
	s_or_b32 exec_lo, exec_lo, s14
.LBB3_85:                               ;   in Loop: Header=BB3_30 Depth=1
	s_delay_alu instid0(SALU_CYCLE_1)
	s_or_b32 exec_lo, exec_lo, s3
	s_clause 0x1
	global_load_b64 v[32:33], v9, s[4:5] offset:40
	global_load_b128 v[24:27], v9, s[4:5]
	v_readfirstlane_b32 s14, v30
	v_readfirstlane_b32 s15, v31
	s_mov_b32 s3, exec_lo
	s_wait_loadcnt 0x1
	v_and_b32_e32 v32, s14, v32
	v_and_b32_e32 v33, s15, v33
	s_delay_alu instid0(VALU_DEP_1) | instskip(SKIP_1) | instid1(VALU_DEP_1)
	v_mul_u64_e32 v[30:31], 24, v[32:33]
	s_wait_loadcnt 0x0
	v_add_nc_u64_e32 v[30:31], v[24:25], v[30:31]
	s_wait_xcnt 0x0
	s_and_saveexec_b32 s16, s2
	s_cbranch_execz .LBB3_87
; %bb.86:                               ;   in Loop: Header=BB3_30 Depth=1
	v_mov_b32_e32 v8, s3
	global_store_b128 v[30:31], v[8:11], off offset:8
.LBB3_87:                               ;   in Loop: Header=BB3_30 Depth=1
	s_wait_xcnt 0x0
	s_or_b32 exec_lo, exec_lo, s16
	v_cmp_lt_u64_e64 vcc_lo, s[10:11], 57
	v_lshlrev_b64_e32 v[32:33], 12, v[32:33]
	v_and_b32_e32 v4, 0xffffff1f, v4
	s_lshl_b32 s3, s12, 2
	s_delay_alu instid0(SALU_CYCLE_1) | instskip(SKIP_1) | instid1(VALU_DEP_3)
	s_add_co_i32 s3, s3, 28
	v_cndmask_b32_e32 v1, 0, v28, vcc_lo
	v_add_nc_u64_e32 v[26:27], v[26:27], v[32:33]
	s_delay_alu instid0(VALU_DEP_2) | instskip(NEXT) | instid1(VALU_DEP_2)
	v_or_b32_e32 v1, v4, v1
	v_readfirstlane_b32 s16, v26
	s_delay_alu instid0(VALU_DEP_3) | instskip(NEXT) | instid1(VALU_DEP_3)
	v_readfirstlane_b32 s17, v27
	v_and_or_b32 v4, 0x1e0, s3, v1
	s_clause 0x3
	global_store_b128 v0, v[4:7], s[16:17]
	global_store_b128 v0, v[12:15], s[16:17] offset:16
	global_store_b128 v0, v[16:19], s[16:17] offset:32
	;; [unrolled: 1-line block ×3, first 2 shown]
	s_wait_xcnt 0x0
	s_and_saveexec_b32 s3, s2
	s_cbranch_execz .LBB3_95
; %bb.88:                               ;   in Loop: Header=BB3_30 Depth=1
	s_clause 0x1
	global_load_b64 v[16:17], v9, s[4:5] offset:32 scope:SCOPE_SYS
	global_load_b64 v[4:5], v9, s[4:5] offset:40
	s_mov_b32 s16, exec_lo
	v_dual_mov_b32 v14, s14 :: v_dual_mov_b32 v15, s15
	s_wait_loadcnt 0x0
	v_and_b32_e32 v5, s15, v5
	v_and_b32_e32 v4, s14, v4
	s_delay_alu instid0(VALU_DEP_1) | instskip(NEXT) | instid1(VALU_DEP_1)
	v_mul_u64_e32 v[4:5], 24, v[4:5]
	v_add_nc_u64_e32 v[12:13], v[24:25], v[4:5]
	global_store_b64 v[12:13], v[16:17], off
	global_wb scope:SCOPE_SYS
	s_wait_storecnt 0x0
	s_wait_xcnt 0x0
	global_atomic_cmpswap_b64 v[6:7], v9, v[14:17], s[4:5] offset:32 th:TH_ATOMIC_RETURN scope:SCOPE_SYS
	s_wait_loadcnt 0x0
	v_cmpx_ne_u64_e64 v[6:7], v[16:17]
	s_cbranch_execz .LBB3_91
; %bb.89:                               ;   in Loop: Header=BB3_30 Depth=1
	s_mov_b32 s17, 0
.LBB3_90:                               ;   Parent Loop BB3_30 Depth=1
                                        ; =>  This Inner Loop Header: Depth=2
	v_dual_mov_b32 v4, s14 :: v_dual_mov_b32 v5, s15
	s_sleep 1
	global_store_b64 v[12:13], v[6:7], off
	global_wb scope:SCOPE_SYS
	s_wait_storecnt 0x0
	s_wait_xcnt 0x0
	global_atomic_cmpswap_b64 v[4:5], v9, v[4:7], s[4:5] offset:32 th:TH_ATOMIC_RETURN scope:SCOPE_SYS
	s_wait_loadcnt 0x0
	v_cmp_eq_u64_e32 vcc_lo, v[4:5], v[6:7]
	v_mov_b64_e32 v[6:7], v[4:5]
	s_or_b32 s17, vcc_lo, s17
	s_delay_alu instid0(SALU_CYCLE_1)
	s_and_not1_b32 exec_lo, exec_lo, s17
	s_cbranch_execnz .LBB3_90
.LBB3_91:                               ;   in Loop: Header=BB3_30 Depth=1
	s_or_b32 exec_lo, exec_lo, s16
	global_load_b64 v[4:5], v9, s[4:5] offset:16
	s_mov_b32 s17, exec_lo
	s_mov_b32 s16, exec_lo
	v_mbcnt_lo_u32_b32 v1, s17, 0
	s_wait_xcnt 0x0
	s_delay_alu instid0(VALU_DEP_1)
	v_cmpx_eq_u32_e32 0, v1
	s_cbranch_execz .LBB3_93
; %bb.92:                               ;   in Loop: Header=BB3_30 Depth=1
	s_bcnt1_i32_b32 s17, s17
	s_delay_alu instid0(SALU_CYCLE_1)
	v_mov_b32_e32 v8, s17
	global_wb scope:SCOPE_SYS
	s_wait_loadcnt 0x0
	s_wait_storecnt 0x0
	global_atomic_add_u64 v[4:5], v[8:9], off offset:8 scope:SCOPE_SYS
.LBB3_93:                               ;   in Loop: Header=BB3_30 Depth=1
	s_wait_xcnt 0x0
	s_or_b32 exec_lo, exec_lo, s16
	s_wait_loadcnt 0x0
	global_load_b64 v[6:7], v[4:5], off offset:16
	s_wait_loadcnt 0x0
	v_cmp_eq_u64_e32 vcc_lo, 0, v[6:7]
	s_cbranch_vccnz .LBB3_95
; %bb.94:                               ;   in Loop: Header=BB3_30 Depth=1
	global_load_b32 v8, v[4:5], off offset:24
	s_wait_loadcnt 0x0
	v_readfirstlane_b32 s16, v8
	global_wb scope:SCOPE_SYS
	s_wait_storecnt 0x0
	s_wait_xcnt 0x0
	global_store_b64 v[6:7], v[8:9], off scope:SCOPE_SYS
	s_and_b32 m0, s16, 0xffffff
	s_sendmsg sendmsg(MSG_INTERRUPT)
.LBB3_95:                               ;   in Loop: Header=BB3_30 Depth=1
	s_wait_xcnt 0x0
	s_or_b32 exec_lo, exec_lo, s3
	v_mov_b32_e32 v1, v9
	s_delay_alu instid0(VALU_DEP_1)
	v_add_nc_u64_e32 v[4:5], v[26:27], v[0:1]
	s_branch .LBB3_99
.LBB3_96:                               ;   in Loop: Header=BB3_99 Depth=2
	s_wait_xcnt 0x0
	s_or_b32 exec_lo, exec_lo, s3
	s_delay_alu instid0(VALU_DEP_1)
	v_readfirstlane_b32 s3, v1
	s_cmp_eq_u32 s3, 0
	s_cbranch_scc1 .LBB3_98
; %bb.97:                               ;   in Loop: Header=BB3_99 Depth=2
	s_sleep 1
	s_cbranch_execnz .LBB3_99
	s_branch .LBB3_101
.LBB3_98:                               ;   in Loop: Header=BB3_30 Depth=1
	s_branch .LBB3_101
.LBB3_99:                               ;   Parent Loop BB3_30 Depth=1
                                        ; =>  This Inner Loop Header: Depth=2
	v_mov_b32_e32 v1, 1
	s_and_saveexec_b32 s3, s2
	s_cbranch_execz .LBB3_96
; %bb.100:                              ;   in Loop: Header=BB3_99 Depth=2
	global_load_b32 v1, v[30:31], off offset:20 scope:SCOPE_SYS
	s_wait_loadcnt 0x0
	global_inv scope:SCOPE_SYS
	v_and_b32_e32 v1, 1, v1
	s_branch .LBB3_96
.LBB3_101:                              ;   in Loop: Header=BB3_30 Depth=1
	global_load_b64 v[4:5], v[4:5], off
	s_wait_xcnt 0x0
	s_and_saveexec_b32 s16, s2
	s_cbranch_execz .LBB3_29
; %bb.102:                              ;   in Loop: Header=BB3_30 Depth=1
	s_clause 0x2
	global_load_b64 v[6:7], v9, s[4:5] offset:40
	global_load_b64 v[16:17], v9, s[4:5] offset:24 scope:SCOPE_SYS
	global_load_b64 v[12:13], v9, s[4:5]
	s_wait_loadcnt 0x2
	v_readfirstlane_b32 s22, v6
	v_readfirstlane_b32 s23, v7
	s_add_nc_u64 s[2:3], s[22:23], 1
	s_delay_alu instid0(SALU_CYCLE_1) | instskip(NEXT) | instid1(SALU_CYCLE_1)
	s_add_nc_u64 s[14:15], s[2:3], s[14:15]
	s_cmp_eq_u64 s[14:15], 0
	s_cselect_b32 s3, s3, s15
	s_cselect_b32 s2, s2, s14
	s_delay_alu instid0(SALU_CYCLE_1) | instskip(SKIP_1) | instid1(SALU_CYCLE_1)
	v_dual_mov_b32 v15, s3 :: v_dual_mov_b32 v14, s2
	s_and_b64 s[14:15], s[2:3], s[22:23]
	s_mul_u64 s[14:15], s[14:15], 24
	s_wait_loadcnt 0x0
	v_add_nc_u64_e32 v[6:7], s[14:15], v[12:13]
	global_store_b64 v[6:7], v[16:17], off
	global_wb scope:SCOPE_SYS
	s_wait_storecnt 0x0
	s_wait_xcnt 0x0
	global_atomic_cmpswap_b64 v[14:15], v9, v[14:17], s[4:5] offset:24 th:TH_ATOMIC_RETURN scope:SCOPE_SYS
	s_wait_loadcnt 0x0
	v_cmp_ne_u64_e32 vcc_lo, v[14:15], v[16:17]
	s_and_b32 exec_lo, exec_lo, vcc_lo
	s_cbranch_execz .LBB3_29
; %bb.103:                              ;   in Loop: Header=BB3_30 Depth=1
	s_mov_b32 s14, 0
.LBB3_104:                              ;   Parent Loop BB3_30 Depth=1
                                        ; =>  This Inner Loop Header: Depth=2
	v_dual_mov_b32 v12, s2 :: v_dual_mov_b32 v13, s3
	s_sleep 1
	global_store_b64 v[6:7], v[14:15], off
	global_wb scope:SCOPE_SYS
	s_wait_storecnt 0x0
	s_wait_xcnt 0x0
	global_atomic_cmpswap_b64 v[12:13], v9, v[12:15], s[4:5] offset:24 th:TH_ATOMIC_RETURN scope:SCOPE_SYS
	s_wait_loadcnt 0x0
	v_cmp_eq_u64_e32 vcc_lo, v[12:13], v[14:15]
	v_mov_b64_e32 v[14:15], v[12:13]
	s_or_b32 s14, vcc_lo, s14
	s_delay_alu instid0(SALU_CYCLE_1)
	s_and_not1_b32 exec_lo, exec_lo, s14
	s_cbranch_execnz .LBB3_104
	s_branch .LBB3_29
.LBB3_105:
	s_branch .LBB3_134
.LBB3_106:
                                        ; implicit-def: $vgpr4_vgpr5
	s_cbranch_execz .LBB3_134
; %bb.107:
	v_readfirstlane_b32 s2, v29
	s_wait_loadcnt 0x0
	v_mov_b64_e32 v[4:5], 0
	s_delay_alu instid0(VALU_DEP_2)
	v_cmp_eq_u32_e64 s2, s2, v29
	s_and_saveexec_b32 s3, s2
	s_cbranch_execz .LBB3_113
; %bb.108:
	v_mov_b32_e32 v1, 0
	s_mov_b32 s6, exec_lo
	global_load_b64 v[6:7], v1, s[4:5] offset:24 scope:SCOPE_SYS
	s_wait_loadcnt 0x0
	global_inv scope:SCOPE_SYS
	s_clause 0x1
	global_load_b64 v[4:5], v1, s[4:5] offset:40
	global_load_b64 v[8:9], v1, s[4:5]
	s_wait_loadcnt 0x1
	v_and_b32_e32 v4, v4, v6
	v_and_b32_e32 v5, v5, v7
	s_delay_alu instid0(VALU_DEP_1) | instskip(SKIP_1) | instid1(VALU_DEP_1)
	v_mul_u64_e32 v[4:5], 24, v[4:5]
	s_wait_loadcnt 0x0
	v_add_nc_u64_e32 v[4:5], v[8:9], v[4:5]
	global_load_b64 v[4:5], v[4:5], off scope:SCOPE_SYS
	s_wait_xcnt 0x0
	s_wait_loadcnt 0x0
	global_atomic_cmpswap_b64 v[4:5], v1, v[4:7], s[4:5] offset:24 th:TH_ATOMIC_RETURN scope:SCOPE_SYS
	s_wait_loadcnt 0x0
	global_inv scope:SCOPE_SYS
	s_wait_xcnt 0x0
	v_cmpx_ne_u64_e64 v[4:5], v[6:7]
	s_cbranch_execz .LBB3_112
; %bb.109:
	s_mov_b32 s7, 0
.LBB3_110:                              ; =>This Inner Loop Header: Depth=1
	s_sleep 1
	s_clause 0x1
	global_load_b64 v[8:9], v1, s[4:5] offset:40
	global_load_b64 v[10:11], v1, s[4:5]
	v_mov_b64_e32 v[6:7], v[4:5]
	s_wait_loadcnt 0x1
	s_delay_alu instid0(VALU_DEP_1) | instskip(NEXT) | instid1(VALU_DEP_2)
	v_and_b32_e32 v4, v8, v6
	v_and_b32_e32 v8, v9, v7
	s_wait_loadcnt 0x0
	s_delay_alu instid0(VALU_DEP_2) | instskip(NEXT) | instid1(VALU_DEP_1)
	v_mad_nc_u64_u32 v[4:5], v4, 24, v[10:11]
	v_mad_u32 v5, v8, 24, v5
	global_load_b64 v[4:5], v[4:5], off scope:SCOPE_SYS
	s_wait_xcnt 0x0
	s_wait_loadcnt 0x0
	global_atomic_cmpswap_b64 v[4:5], v1, v[4:7], s[4:5] offset:24 th:TH_ATOMIC_RETURN scope:SCOPE_SYS
	s_wait_loadcnt 0x0
	global_inv scope:SCOPE_SYS
	v_cmp_eq_u64_e32 vcc_lo, v[4:5], v[6:7]
	s_or_b32 s7, vcc_lo, s7
	s_wait_xcnt 0x0
	s_and_not1_b32 exec_lo, exec_lo, s7
	s_cbranch_execnz .LBB3_110
; %bb.111:
	s_or_b32 exec_lo, exec_lo, s7
.LBB3_112:
	s_delay_alu instid0(SALU_CYCLE_1)
	s_or_b32 exec_lo, exec_lo, s6
.LBB3_113:
	s_delay_alu instid0(SALU_CYCLE_1)
	s_or_b32 exec_lo, exec_lo, s3
	v_readfirstlane_b32 s6, v4
	v_mov_b32_e32 v1, 0
	v_readfirstlane_b32 s7, v5
	s_mov_b32 s3, exec_lo
	s_clause 0x1
	global_load_b64 v[10:11], v1, s[4:5] offset:40
	global_load_b128 v[6:9], v1, s[4:5]
	s_wait_loadcnt 0x1
	v_and_b32_e32 v4, s6, v10
	v_and_b32_e32 v5, s7, v11
	s_delay_alu instid0(VALU_DEP_1) | instskip(SKIP_1) | instid1(VALU_DEP_1)
	v_mul_u64_e32 v[10:11], 24, v[4:5]
	s_wait_loadcnt 0x0
	v_add_nc_u64_e32 v[10:11], v[6:7], v[10:11]
	s_wait_xcnt 0x0
	s_and_saveexec_b32 s10, s2
	s_cbranch_execz .LBB3_115
; %bb.114:
	v_mov_b64_e32 v[14:15], 0x100000002
	v_dual_mov_b32 v12, s3 :: v_dual_mov_b32 v13, v1
	global_store_b128 v[10:11], v[12:15], off offset:8
.LBB3_115:
	s_wait_xcnt 0x0
	s_or_b32 exec_lo, exec_lo, s10
	v_lshlrev_b64_e32 v[4:5], 12, v[4:5]
	s_mov_b32 s12, 0
	v_and_or_b32 v2, 0xffffff1f, v2, 32
	s_mov_b32 s13, s12
	s_mov_b32 s14, s12
	;; [unrolled: 1-line block ×3, first 2 shown]
	v_mov_b64_e32 v[12:13], s[12:13]
	v_add_nc_u64_e32 v[8:9], v[8:9], v[4:5]
	v_mov_b64_e32 v[14:15], s[14:15]
	v_dual_mov_b32 v4, v1 :: v_dual_mov_b32 v5, v1
	s_delay_alu instid0(VALU_DEP_3) | instskip(NEXT) | instid1(VALU_DEP_4)
	v_readfirstlane_b32 s10, v8
	v_readfirstlane_b32 s11, v9
	s_clause 0x3
	global_store_b128 v0, v[2:5], s[10:11]
	global_store_b128 v0, v[12:15], s[10:11] offset:16
	global_store_b128 v0, v[12:15], s[10:11] offset:32
	global_store_b128 v0, v[12:15], s[10:11] offset:48
	s_wait_xcnt 0x0
	s_and_saveexec_b32 s3, s2
	s_cbranch_execz .LBB3_123
; %bb.116:
	v_dual_mov_b32 v12, 0 :: v_dual_mov_b32 v15, s7
	s_mov_b32 s10, exec_lo
	s_clause 0x1
	global_load_b64 v[16:17], v12, s[4:5] offset:32 scope:SCOPE_SYS
	global_load_b64 v[2:3], v12, s[4:5] offset:40
	s_wait_loadcnt 0x0
	v_dual_mov_b32 v14, s6 :: v_dual_bitop2_b32 v3, s7, v3 bitop3:0x40
	v_and_b32_e32 v2, s6, v2
	s_delay_alu instid0(VALU_DEP_1) | instskip(NEXT) | instid1(VALU_DEP_1)
	v_mul_u64_e32 v[2:3], 24, v[2:3]
	v_add_nc_u64_e32 v[6:7], v[6:7], v[2:3]
	global_store_b64 v[6:7], v[16:17], off
	global_wb scope:SCOPE_SYS
	s_wait_storecnt 0x0
	s_wait_xcnt 0x0
	global_atomic_cmpswap_b64 v[4:5], v12, v[14:17], s[4:5] offset:32 th:TH_ATOMIC_RETURN scope:SCOPE_SYS
	s_wait_loadcnt 0x0
	v_cmpx_ne_u64_e64 v[4:5], v[16:17]
	s_cbranch_execz .LBB3_119
; %bb.117:
	s_mov_b32 s11, 0
.LBB3_118:                              ; =>This Inner Loop Header: Depth=1
	v_dual_mov_b32 v2, s6 :: v_dual_mov_b32 v3, s7
	s_sleep 1
	global_store_b64 v[6:7], v[4:5], off
	global_wb scope:SCOPE_SYS
	s_wait_storecnt 0x0
	s_wait_xcnt 0x0
	global_atomic_cmpswap_b64 v[2:3], v12, v[2:5], s[4:5] offset:32 th:TH_ATOMIC_RETURN scope:SCOPE_SYS
	s_wait_loadcnt 0x0
	v_cmp_eq_u64_e32 vcc_lo, v[2:3], v[4:5]
	v_mov_b64_e32 v[4:5], v[2:3]
	s_or_b32 s11, vcc_lo, s11
	s_delay_alu instid0(SALU_CYCLE_1)
	s_and_not1_b32 exec_lo, exec_lo, s11
	s_cbranch_execnz .LBB3_118
.LBB3_119:
	s_or_b32 exec_lo, exec_lo, s10
	v_mov_b32_e32 v5, 0
	s_mov_b32 s11, exec_lo
	s_mov_b32 s10, exec_lo
	v_mbcnt_lo_u32_b32 v4, s11, 0
	global_load_b64 v[2:3], v5, s[4:5] offset:16
	s_wait_xcnt 0x0
	v_cmpx_eq_u32_e32 0, v4
	s_cbranch_execz .LBB3_121
; %bb.120:
	s_bcnt1_i32_b32 s11, s11
	s_delay_alu instid0(SALU_CYCLE_1)
	v_mov_b32_e32 v4, s11
	global_wb scope:SCOPE_SYS
	s_wait_loadcnt 0x0
	s_wait_storecnt 0x0
	global_atomic_add_u64 v[2:3], v[4:5], off offset:8 scope:SCOPE_SYS
.LBB3_121:
	s_wait_xcnt 0x0
	s_or_b32 exec_lo, exec_lo, s10
	s_wait_loadcnt 0x0
	global_load_b64 v[4:5], v[2:3], off offset:16
	s_wait_loadcnt 0x0
	v_cmp_eq_u64_e32 vcc_lo, 0, v[4:5]
	s_cbranch_vccnz .LBB3_123
; %bb.122:
	global_load_b32 v2, v[2:3], off offset:24
	s_wait_xcnt 0x0
	v_mov_b32_e32 v3, 0
	s_wait_loadcnt 0x0
	v_readfirstlane_b32 s10, v2
	global_wb scope:SCOPE_SYS
	s_wait_storecnt 0x0
	global_store_b64 v[4:5], v[2:3], off scope:SCOPE_SYS
	s_and_b32 m0, s10, 0xffffff
	s_sendmsg sendmsg(MSG_INTERRUPT)
.LBB3_123:
	s_wait_xcnt 0x0
	s_or_b32 exec_lo, exec_lo, s3
	v_add_nc_u64_e32 v[2:3], v[8:9], v[0:1]
	s_branch .LBB3_127
.LBB3_124:                              ;   in Loop: Header=BB3_127 Depth=1
	s_wait_xcnt 0x0
	s_or_b32 exec_lo, exec_lo, s3
	s_delay_alu instid0(VALU_DEP_1)
	v_readfirstlane_b32 s3, v1
	s_cmp_eq_u32 s3, 0
	s_cbranch_scc1 .LBB3_126
; %bb.125:                              ;   in Loop: Header=BB3_127 Depth=1
	s_sleep 1
	s_cbranch_execnz .LBB3_127
	s_branch .LBB3_129
.LBB3_126:
	s_branch .LBB3_129
.LBB3_127:                              ; =>This Inner Loop Header: Depth=1
	v_mov_b32_e32 v1, 1
	s_and_saveexec_b32 s3, s2
	s_cbranch_execz .LBB3_124
; %bb.128:                              ;   in Loop: Header=BB3_127 Depth=1
	global_load_b32 v1, v[10:11], off offset:20 scope:SCOPE_SYS
	s_wait_loadcnt 0x0
	global_inv scope:SCOPE_SYS
	v_and_b32_e32 v1, 1, v1
	s_branch .LBB3_124
.LBB3_129:
	global_load_b64 v[4:5], v[2:3], off
	s_wait_xcnt 0x0
	s_and_saveexec_b32 s10, s2
	s_cbranch_execz .LBB3_133
; %bb.130:
	v_mov_b32_e32 v1, 0
	s_clause 0x2
	global_load_b64 v[2:3], v1, s[4:5] offset:40
	global_load_b64 v[10:11], v1, s[4:5] offset:24 scope:SCOPE_SYS
	global_load_b64 v[6:7], v1, s[4:5]
	s_wait_loadcnt 0x2
	v_readfirstlane_b32 s12, v2
	v_readfirstlane_b32 s13, v3
	s_add_nc_u64 s[2:3], s[12:13], 1
	s_delay_alu instid0(SALU_CYCLE_1) | instskip(NEXT) | instid1(SALU_CYCLE_1)
	s_add_nc_u64 s[6:7], s[2:3], s[6:7]
	s_cmp_eq_u64 s[6:7], 0
	s_cselect_b32 s3, s3, s7
	s_cselect_b32 s2, s2, s6
	v_mov_b32_e32 v9, s3
	s_and_b64 s[6:7], s[2:3], s[12:13]
	v_mov_b32_e32 v8, s2
	s_mul_u64 s[6:7], s[6:7], 24
	s_wait_loadcnt 0x0
	v_add_nc_u64_e32 v[2:3], s[6:7], v[6:7]
	global_store_b64 v[2:3], v[10:11], off
	global_wb scope:SCOPE_SYS
	s_wait_storecnt 0x0
	s_wait_xcnt 0x0
	global_atomic_cmpswap_b64 v[8:9], v1, v[8:11], s[4:5] offset:24 th:TH_ATOMIC_RETURN scope:SCOPE_SYS
	s_wait_loadcnt 0x0
	v_cmp_ne_u64_e32 vcc_lo, v[8:9], v[10:11]
	s_and_b32 exec_lo, exec_lo, vcc_lo
	s_cbranch_execz .LBB3_133
; %bb.131:
	s_mov_b32 s6, 0
.LBB3_132:                              ; =>This Inner Loop Header: Depth=1
	v_dual_mov_b32 v6, s2 :: v_dual_mov_b32 v7, s3
	s_sleep 1
	global_store_b64 v[2:3], v[8:9], off
	global_wb scope:SCOPE_SYS
	s_wait_storecnt 0x0
	s_wait_xcnt 0x0
	global_atomic_cmpswap_b64 v[6:7], v1, v[6:9], s[4:5] offset:24 th:TH_ATOMIC_RETURN scope:SCOPE_SYS
	s_wait_loadcnt 0x0
	v_cmp_eq_u64_e32 vcc_lo, v[6:7], v[8:9]
	v_mov_b64_e32 v[8:9], v[6:7]
	s_or_b32 s6, vcc_lo, s6
	s_delay_alu instid0(SALU_CYCLE_1)
	s_and_not1_b32 exec_lo, exec_lo, s6
	s_cbranch_execnz .LBB3_132
.LBB3_133:
	s_or_b32 exec_lo, exec_lo, s10
.LBB3_134:
	v_readfirstlane_b32 s2, v29
	s_wait_loadcnt 0x0
	v_mov_b64_e32 v[2:3], 0
	s_delay_alu instid0(VALU_DEP_2)
	v_cmp_eq_u32_e64 s2, s2, v29
	s_and_saveexec_b32 s3, s2
	s_cbranch_execz .LBB3_140
; %bb.135:
	v_mov_b32_e32 v1, 0
	s_mov_b32 s6, exec_lo
	global_load_b64 v[8:9], v1, s[4:5] offset:24 scope:SCOPE_SYS
	s_wait_loadcnt 0x0
	global_inv scope:SCOPE_SYS
	s_clause 0x1
	global_load_b64 v[2:3], v1, s[4:5] offset:40
	global_load_b64 v[6:7], v1, s[4:5]
	s_wait_loadcnt 0x1
	v_and_b32_e32 v2, v2, v8
	v_and_b32_e32 v3, v3, v9
	s_delay_alu instid0(VALU_DEP_1) | instskip(SKIP_1) | instid1(VALU_DEP_1)
	v_mul_u64_e32 v[2:3], 24, v[2:3]
	s_wait_loadcnt 0x0
	v_add_nc_u64_e32 v[2:3], v[6:7], v[2:3]
	global_load_b64 v[6:7], v[2:3], off scope:SCOPE_SYS
	s_wait_xcnt 0x0
	s_wait_loadcnt 0x0
	global_atomic_cmpswap_b64 v[2:3], v1, v[6:9], s[4:5] offset:24 th:TH_ATOMIC_RETURN scope:SCOPE_SYS
	s_wait_loadcnt 0x0
	global_inv scope:SCOPE_SYS
	s_wait_xcnt 0x0
	v_cmpx_ne_u64_e64 v[2:3], v[8:9]
	s_cbranch_execz .LBB3_139
; %bb.136:
	s_mov_b32 s7, 0
.LBB3_137:                              ; =>This Inner Loop Header: Depth=1
	s_sleep 1
	s_clause 0x1
	global_load_b64 v[6:7], v1, s[4:5] offset:40
	global_load_b64 v[10:11], v1, s[4:5]
	v_mov_b64_e32 v[8:9], v[2:3]
	s_wait_loadcnt 0x1
	s_delay_alu instid0(VALU_DEP_1) | instskip(NEXT) | instid1(VALU_DEP_2)
	v_and_b32_e32 v2, v6, v8
	v_and_b32_e32 v6, v7, v9
	s_wait_loadcnt 0x0
	s_delay_alu instid0(VALU_DEP_2) | instskip(NEXT) | instid1(VALU_DEP_1)
	v_mad_nc_u64_u32 v[2:3], v2, 24, v[10:11]
	v_mad_u32 v3, v6, 24, v3
	global_load_b64 v[6:7], v[2:3], off scope:SCOPE_SYS
	s_wait_xcnt 0x0
	s_wait_loadcnt 0x0
	global_atomic_cmpswap_b64 v[2:3], v1, v[6:9], s[4:5] offset:24 th:TH_ATOMIC_RETURN scope:SCOPE_SYS
	s_wait_loadcnt 0x0
	global_inv scope:SCOPE_SYS
	v_cmp_eq_u64_e32 vcc_lo, v[2:3], v[8:9]
	s_or_b32 s7, vcc_lo, s7
	s_wait_xcnt 0x0
	s_and_not1_b32 exec_lo, exec_lo, s7
	s_cbranch_execnz .LBB3_137
; %bb.138:
	s_or_b32 exec_lo, exec_lo, s7
.LBB3_139:
	s_delay_alu instid0(SALU_CYCLE_1)
	s_or_b32 exec_lo, exec_lo, s6
.LBB3_140:
	s_delay_alu instid0(SALU_CYCLE_1)
	s_or_b32 exec_lo, exec_lo, s3
	v_readfirstlane_b32 s6, v2
	v_mov_b32_e32 v1, 0
	v_readfirstlane_b32 s7, v3
	s_mov_b32 s3, exec_lo
	s_clause 0x1
	global_load_b64 v[6:7], v1, s[4:5] offset:40
	global_load_b128 v[8:11], v1, s[4:5]
	s_wait_loadcnt 0x1
	v_and_b32_e32 v2, s6, v6
	v_and_b32_e32 v3, s7, v7
	s_delay_alu instid0(VALU_DEP_1) | instskip(SKIP_1) | instid1(VALU_DEP_1)
	v_mul_u64_e32 v[6:7], 24, v[2:3]
	s_wait_loadcnt 0x0
	v_add_nc_u64_e32 v[12:13], v[8:9], v[6:7]
	s_wait_xcnt 0x0
	s_and_saveexec_b32 s10, s2
	s_cbranch_execz .LBB3_142
; %bb.141:
	v_mov_b64_e32 v[16:17], 0x100000002
	v_dual_mov_b32 v14, s3 :: v_dual_mov_b32 v15, v1
	global_store_b128 v[12:13], v[14:17], off offset:8
.LBB3_142:
	s_wait_xcnt 0x0
	s_or_b32 exec_lo, exec_lo, s10
	v_lshlrev_b64_e32 v[2:3], 12, v[2:3]
	s_mul_i32 s3, s19, s20
	s_and_b32 s10, 0xffff, s21
	s_mov_b32 s12, 0
	s_mul_i32 s3, s3, s10
	s_mov_b32 s14, s12
	s_mov_b32 s15, s12
	v_add_nc_u64_e32 v[10:11], v[10:11], v[2:3]
	s_mov_b32 s13, s12
	s_lshr_b32 s3, s3, 4
	v_mov_b64_e32 v[16:17], s[14:15]
	v_mov_b64_e32 v[14:15], s[12:13]
	v_and_or_b32 v4, 0xffffff1f, v4, 32
	v_dual_mov_b32 v7, v1 :: v_dual_mov_b32 v6, s3
	v_readfirstlane_b32 s10, v10
	v_readfirstlane_b32 s11, v11
	s_clause 0x3
	global_store_b128 v0, v[4:7], s[10:11]
	global_store_b128 v0, v[14:17], s[10:11] offset:16
	global_store_b128 v0, v[14:17], s[10:11] offset:32
	;; [unrolled: 1-line block ×3, first 2 shown]
	s_wait_xcnt 0x0
	s_and_saveexec_b32 s3, s2
	s_cbranch_execz .LBB3_150
; %bb.143:
	v_dual_mov_b32 v14, 0 :: v_dual_mov_b32 v17, s7
	s_mov_b32 s10, exec_lo
	s_clause 0x1
	global_load_b64 v[18:19], v14, s[4:5] offset:32 scope:SCOPE_SYS
	global_load_b64 v[2:3], v14, s[4:5] offset:40
	s_wait_loadcnt 0x0
	v_dual_mov_b32 v16, s6 :: v_dual_bitop2_b32 v3, s7, v3 bitop3:0x40
	v_and_b32_e32 v2, s6, v2
	s_delay_alu instid0(VALU_DEP_1) | instskip(NEXT) | instid1(VALU_DEP_1)
	v_mul_u64_e32 v[2:3], 24, v[2:3]
	v_add_nc_u64_e32 v[6:7], v[8:9], v[2:3]
	global_store_b64 v[6:7], v[18:19], off
	global_wb scope:SCOPE_SYS
	s_wait_storecnt 0x0
	s_wait_xcnt 0x0
	global_atomic_cmpswap_b64 v[4:5], v14, v[16:19], s[4:5] offset:32 th:TH_ATOMIC_RETURN scope:SCOPE_SYS
	s_wait_loadcnt 0x0
	v_cmpx_ne_u64_e64 v[4:5], v[18:19]
	s_cbranch_execz .LBB3_146
; %bb.144:
	s_mov_b32 s11, 0
.LBB3_145:                              ; =>This Inner Loop Header: Depth=1
	v_dual_mov_b32 v2, s6 :: v_dual_mov_b32 v3, s7
	s_sleep 1
	global_store_b64 v[6:7], v[4:5], off
	global_wb scope:SCOPE_SYS
	s_wait_storecnt 0x0
	s_wait_xcnt 0x0
	global_atomic_cmpswap_b64 v[2:3], v14, v[2:5], s[4:5] offset:32 th:TH_ATOMIC_RETURN scope:SCOPE_SYS
	s_wait_loadcnt 0x0
	v_cmp_eq_u64_e32 vcc_lo, v[2:3], v[4:5]
	v_mov_b64_e32 v[4:5], v[2:3]
	s_or_b32 s11, vcc_lo, s11
	s_delay_alu instid0(SALU_CYCLE_1)
	s_and_not1_b32 exec_lo, exec_lo, s11
	s_cbranch_execnz .LBB3_145
.LBB3_146:
	s_or_b32 exec_lo, exec_lo, s10
	v_mov_b32_e32 v5, 0
	s_mov_b32 s11, exec_lo
	s_mov_b32 s10, exec_lo
	v_mbcnt_lo_u32_b32 v4, s11, 0
	global_load_b64 v[2:3], v5, s[4:5] offset:16
	s_wait_xcnt 0x0
	v_cmpx_eq_u32_e32 0, v4
	s_cbranch_execz .LBB3_148
; %bb.147:
	s_bcnt1_i32_b32 s11, s11
	s_delay_alu instid0(SALU_CYCLE_1)
	v_mov_b32_e32 v4, s11
	global_wb scope:SCOPE_SYS
	s_wait_loadcnt 0x0
	s_wait_storecnt 0x0
	global_atomic_add_u64 v[2:3], v[4:5], off offset:8 scope:SCOPE_SYS
.LBB3_148:
	s_wait_xcnt 0x0
	s_or_b32 exec_lo, exec_lo, s10
	s_wait_loadcnt 0x0
	global_load_b64 v[4:5], v[2:3], off offset:16
	s_wait_loadcnt 0x0
	v_cmp_eq_u64_e32 vcc_lo, 0, v[4:5]
	s_cbranch_vccnz .LBB3_150
; %bb.149:
	global_load_b32 v2, v[2:3], off offset:24
	s_wait_xcnt 0x0
	v_mov_b32_e32 v3, 0
	s_wait_loadcnt 0x0
	v_readfirstlane_b32 s10, v2
	global_wb scope:SCOPE_SYS
	s_wait_storecnt 0x0
	global_store_b64 v[4:5], v[2:3], off scope:SCOPE_SYS
	s_and_b32 m0, s10, 0xffffff
	s_sendmsg sendmsg(MSG_INTERRUPT)
.LBB3_150:
	s_wait_xcnt 0x0
	s_or_b32 exec_lo, exec_lo, s3
	v_add_nc_u64_e32 v[2:3], v[10:11], v[0:1]
	s_branch .LBB3_154
.LBB3_151:                              ;   in Loop: Header=BB3_154 Depth=1
	s_wait_xcnt 0x0
	s_or_b32 exec_lo, exec_lo, s3
	s_delay_alu instid0(VALU_DEP_1)
	v_readfirstlane_b32 s3, v1
	s_cmp_eq_u32 s3, 0
	s_cbranch_scc1 .LBB3_153
; %bb.152:                              ;   in Loop: Header=BB3_154 Depth=1
	s_sleep 1
	s_cbranch_execnz .LBB3_154
	s_branch .LBB3_156
.LBB3_153:
	s_branch .LBB3_156
.LBB3_154:                              ; =>This Inner Loop Header: Depth=1
	v_mov_b32_e32 v1, 1
	s_and_saveexec_b32 s3, s2
	s_cbranch_execz .LBB3_151
; %bb.155:                              ;   in Loop: Header=BB3_154 Depth=1
	global_load_b32 v1, v[12:13], off offset:20 scope:SCOPE_SYS
	s_wait_loadcnt 0x0
	global_inv scope:SCOPE_SYS
	v_and_b32_e32 v1, 1, v1
	s_branch .LBB3_151
.LBB3_156:
	global_load_b64 v[2:3], v[2:3], off
	s_wait_xcnt 0x0
	s_and_saveexec_b32 s10, s2
	s_cbranch_execz .LBB3_160
; %bb.157:
	v_mov_b32_e32 v1, 0
	s_clause 0x2
	global_load_b64 v[4:5], v1, s[4:5] offset:40
	global_load_b64 v[12:13], v1, s[4:5] offset:24 scope:SCOPE_SYS
	global_load_b64 v[6:7], v1, s[4:5]
	s_wait_loadcnt 0x2
	v_readfirstlane_b32 s12, v4
	v_readfirstlane_b32 s13, v5
	s_add_nc_u64 s[2:3], s[12:13], 1
	s_delay_alu instid0(SALU_CYCLE_1) | instskip(NEXT) | instid1(SALU_CYCLE_1)
	s_add_nc_u64 s[6:7], s[2:3], s[6:7]
	s_cmp_eq_u64 s[6:7], 0
	s_cselect_b32 s3, s3, s7
	s_cselect_b32 s2, s2, s6
	v_mov_b32_e32 v11, s3
	s_and_b64 s[6:7], s[2:3], s[12:13]
	v_mov_b32_e32 v10, s2
	s_mul_u64 s[6:7], s[6:7], 24
	s_wait_loadcnt 0x0
	v_add_nc_u64_e32 v[8:9], s[6:7], v[6:7]
	global_store_b64 v[8:9], v[12:13], off
	global_wb scope:SCOPE_SYS
	s_wait_storecnt 0x0
	s_wait_xcnt 0x0
	global_atomic_cmpswap_b64 v[6:7], v1, v[10:13], s[4:5] offset:24 th:TH_ATOMIC_RETURN scope:SCOPE_SYS
	s_wait_loadcnt 0x0
	v_cmp_ne_u64_e32 vcc_lo, v[6:7], v[12:13]
	s_and_b32 exec_lo, exec_lo, vcc_lo
	s_cbranch_execz .LBB3_160
; %bb.158:
	s_mov_b32 s6, 0
.LBB3_159:                              ; =>This Inner Loop Header: Depth=1
	v_dual_mov_b32 v4, s2 :: v_dual_mov_b32 v5, s3
	s_sleep 1
	global_store_b64 v[8:9], v[6:7], off
	global_wb scope:SCOPE_SYS
	s_wait_storecnt 0x0
	s_wait_xcnt 0x0
	global_atomic_cmpswap_b64 v[4:5], v1, v[4:7], s[4:5] offset:24 th:TH_ATOMIC_RETURN scope:SCOPE_SYS
	s_wait_loadcnt 0x0
	v_cmp_eq_u64_e32 vcc_lo, v[4:5], v[6:7]
	v_mov_b64_e32 v[6:7], v[4:5]
	s_or_b32 s6, vcc_lo, s6
	s_delay_alu instid0(SALU_CYCLE_1)
	s_and_not1_b32 exec_lo, exec_lo, s6
	s_cbranch_execnz .LBB3_159
.LBB3_160:
	s_or_b32 exec_lo, exec_lo, s10
	v_readfirstlane_b32 s2, v29
	v_mov_b64_e32 v[10:11], 0
	s_delay_alu instid0(VALU_DEP_2)
	v_cmp_eq_u32_e64 s2, s2, v29
	s_and_saveexec_b32 s3, s2
	s_cbranch_execz .LBB3_166
; %bb.161:
	v_mov_b32_e32 v1, 0
	s_mov_b32 s6, exec_lo
	global_load_b64 v[6:7], v1, s[4:5] offset:24 scope:SCOPE_SYS
	s_wait_loadcnt 0x0
	global_inv scope:SCOPE_SYS
	s_clause 0x1
	global_load_b64 v[4:5], v1, s[4:5] offset:40
	global_load_b64 v[8:9], v1, s[4:5]
	s_wait_loadcnt 0x1
	v_and_b32_e32 v4, v4, v6
	v_and_b32_e32 v5, v5, v7
	s_delay_alu instid0(VALU_DEP_1) | instskip(SKIP_1) | instid1(VALU_DEP_1)
	v_mul_u64_e32 v[4:5], 24, v[4:5]
	s_wait_loadcnt 0x0
	v_add_nc_u64_e32 v[4:5], v[8:9], v[4:5]
	global_load_b64 v[4:5], v[4:5], off scope:SCOPE_SYS
	s_wait_xcnt 0x0
	s_wait_loadcnt 0x0
	global_atomic_cmpswap_b64 v[10:11], v1, v[4:7], s[4:5] offset:24 th:TH_ATOMIC_RETURN scope:SCOPE_SYS
	s_wait_loadcnt 0x0
	global_inv scope:SCOPE_SYS
	s_wait_xcnt 0x0
	v_cmpx_ne_u64_e64 v[10:11], v[6:7]
	s_cbranch_execz .LBB3_165
; %bb.162:
	s_mov_b32 s7, 0
.LBB3_163:                              ; =>This Inner Loop Header: Depth=1
	s_sleep 1
	s_clause 0x1
	global_load_b64 v[4:5], v1, s[4:5] offset:40
	global_load_b64 v[8:9], v1, s[4:5]
	v_mov_b64_e32 v[6:7], v[10:11]
	s_wait_loadcnt 0x1
	s_delay_alu instid0(VALU_DEP_1) | instskip(SKIP_1) | instid1(VALU_DEP_1)
	v_and_b32_e32 v4, v4, v6
	s_wait_loadcnt 0x0
	v_mad_nc_u64_u32 v[8:9], v4, 24, v[8:9]
	s_delay_alu instid0(VALU_DEP_3) | instskip(NEXT) | instid1(VALU_DEP_1)
	v_and_b32_e32 v4, v5, v7
	v_mad_u32 v9, v4, 24, v9
	global_load_b64 v[4:5], v[8:9], off scope:SCOPE_SYS
	s_wait_xcnt 0x0
	s_wait_loadcnt 0x0
	global_atomic_cmpswap_b64 v[10:11], v1, v[4:7], s[4:5] offset:24 th:TH_ATOMIC_RETURN scope:SCOPE_SYS
	s_wait_loadcnt 0x0
	global_inv scope:SCOPE_SYS
	v_cmp_eq_u64_e32 vcc_lo, v[10:11], v[6:7]
	s_or_b32 s7, vcc_lo, s7
	s_wait_xcnt 0x0
	s_and_not1_b32 exec_lo, exec_lo, s7
	s_cbranch_execnz .LBB3_163
; %bb.164:
	s_or_b32 exec_lo, exec_lo, s7
.LBB3_165:
	s_delay_alu instid0(SALU_CYCLE_1)
	s_or_b32 exec_lo, exec_lo, s6
.LBB3_166:
	s_delay_alu instid0(SALU_CYCLE_1)
	s_or_b32 exec_lo, exec_lo, s3
	v_readfirstlane_b32 s6, v10
	v_mov_b32_e32 v5, 0
	v_readfirstlane_b32 s7, v11
	s_mov_b32 s3, exec_lo
	s_clause 0x1
	global_load_b64 v[12:13], v5, s[4:5] offset:40
	global_load_b128 v[6:9], v5, s[4:5]
	s_wait_loadcnt 0x1
	v_and_b32_e32 v12, s6, v12
	v_and_b32_e32 v13, s7, v13
	s_delay_alu instid0(VALU_DEP_1) | instskip(SKIP_1) | instid1(VALU_DEP_1)
	v_mul_u64_e32 v[10:11], 24, v[12:13]
	s_wait_loadcnt 0x0
	v_add_nc_u64_e32 v[10:11], v[6:7], v[10:11]
	s_wait_xcnt 0x0
	s_and_saveexec_b32 s10, s2
	s_cbranch_execz .LBB3_168
; %bb.167:
	v_mov_b32_e32 v4, s3
	v_mov_b64_e32 v[16:17], 0x100000002
	s_delay_alu instid0(VALU_DEP_2)
	v_mov_b64_e32 v[14:15], v[4:5]
	global_store_b128 v[10:11], v[14:17], off offset:8
.LBB3_168:
	s_wait_xcnt 0x0
	s_or_b32 exec_lo, exec_lo, s10
	v_lshlrev_b64_e32 v[12:13], 12, v[12:13]
	s_mov_b32 s12, 0
	v_and_or_b32 v2, 0xffffff1d, v2, 34
	s_mov_b32 s13, s12
	s_mov_b32 s14, s12
	;; [unrolled: 1-line block ×3, first 2 shown]
	v_mov_b32_e32 v4, 16
	v_add_nc_u64_e32 v[8:9], v[8:9], v[12:13]
	v_mov_b64_e32 v[12:13], s[12:13]
	v_mov_b64_e32 v[14:15], s[14:15]
	s_delay_alu instid0(VALU_DEP_3) | instskip(NEXT) | instid1(VALU_DEP_4)
	v_readfirstlane_b32 s10, v8
	v_readfirstlane_b32 s11, v9
	s_clause 0x3
	global_store_b128 v0, v[2:5], s[10:11]
	global_store_b128 v0, v[12:15], s[10:11] offset:16
	global_store_b128 v0, v[12:15], s[10:11] offset:32
	;; [unrolled: 1-line block ×3, first 2 shown]
	s_wait_xcnt 0x0
	s_and_saveexec_b32 s3, s2
	s_cbranch_execz .LBB3_176
; %bb.169:
	v_dual_mov_b32 v8, 0 :: v_dual_mov_b32 v13, s7
	s_mov_b32 s10, exec_lo
	s_clause 0x1
	global_load_b64 v[14:15], v8, s[4:5] offset:32 scope:SCOPE_SYS
	global_load_b64 v[0:1], v8, s[4:5] offset:40
	s_wait_loadcnt 0x0
	v_dual_mov_b32 v12, s6 :: v_dual_bitop2_b32 v1, s7, v1 bitop3:0x40
	v_and_b32_e32 v0, s6, v0
	s_delay_alu instid0(VALU_DEP_1) | instskip(NEXT) | instid1(VALU_DEP_1)
	v_mul_u64_e32 v[0:1], 24, v[0:1]
	v_add_nc_u64_e32 v[4:5], v[6:7], v[0:1]
	global_store_b64 v[4:5], v[14:15], off
	global_wb scope:SCOPE_SYS
	s_wait_storecnt 0x0
	s_wait_xcnt 0x0
	global_atomic_cmpswap_b64 v[2:3], v8, v[12:15], s[4:5] offset:32 th:TH_ATOMIC_RETURN scope:SCOPE_SYS
	s_wait_loadcnt 0x0
	v_cmpx_ne_u64_e64 v[2:3], v[14:15]
	s_cbranch_execz .LBB3_172
; %bb.170:
	s_mov_b32 s11, 0
.LBB3_171:                              ; =>This Inner Loop Header: Depth=1
	v_dual_mov_b32 v0, s6 :: v_dual_mov_b32 v1, s7
	s_sleep 1
	global_store_b64 v[4:5], v[2:3], off
	global_wb scope:SCOPE_SYS
	s_wait_storecnt 0x0
	s_wait_xcnt 0x0
	global_atomic_cmpswap_b64 v[0:1], v8, v[0:3], s[4:5] offset:32 th:TH_ATOMIC_RETURN scope:SCOPE_SYS
	s_wait_loadcnt 0x0
	v_cmp_eq_u64_e32 vcc_lo, v[0:1], v[2:3]
	v_mov_b64_e32 v[2:3], v[0:1]
	s_or_b32 s11, vcc_lo, s11
	s_delay_alu instid0(SALU_CYCLE_1)
	s_and_not1_b32 exec_lo, exec_lo, s11
	s_cbranch_execnz .LBB3_171
.LBB3_172:
	s_or_b32 exec_lo, exec_lo, s10
	v_mov_b32_e32 v3, 0
	s_mov_b32 s11, exec_lo
	s_mov_b32 s10, exec_lo
	v_mbcnt_lo_u32_b32 v2, s11, 0
	global_load_b64 v[0:1], v3, s[4:5] offset:16
	s_wait_xcnt 0x0
	v_cmpx_eq_u32_e32 0, v2
	s_cbranch_execz .LBB3_174
; %bb.173:
	s_bcnt1_i32_b32 s11, s11
	s_delay_alu instid0(SALU_CYCLE_1)
	v_mov_b32_e32 v2, s11
	global_wb scope:SCOPE_SYS
	s_wait_loadcnt 0x0
	s_wait_storecnt 0x0
	global_atomic_add_u64 v[0:1], v[2:3], off offset:8 scope:SCOPE_SYS
.LBB3_174:
	s_wait_xcnt 0x0
	s_or_b32 exec_lo, exec_lo, s10
	s_wait_loadcnt 0x0
	global_load_b64 v[2:3], v[0:1], off offset:16
	s_wait_loadcnt 0x0
	v_cmp_eq_u64_e32 vcc_lo, 0, v[2:3]
	s_cbranch_vccnz .LBB3_176
; %bb.175:
	global_load_b32 v0, v[0:1], off offset:24
	s_wait_xcnt 0x0
	v_mov_b32_e32 v1, 0
	s_wait_loadcnt 0x0
	v_readfirstlane_b32 s10, v0
	global_wb scope:SCOPE_SYS
	s_wait_storecnt 0x0
	global_store_b64 v[2:3], v[0:1], off scope:SCOPE_SYS
	s_and_b32 m0, s10, 0xffffff
	s_sendmsg sendmsg(MSG_INTERRUPT)
.LBB3_176:
	s_wait_xcnt 0x0
	s_or_b32 exec_lo, exec_lo, s3
	s_branch .LBB3_180
.LBB3_177:                              ;   in Loop: Header=BB3_180 Depth=1
	s_wait_xcnt 0x0
	s_or_b32 exec_lo, exec_lo, s3
	s_delay_alu instid0(VALU_DEP_1)
	v_readfirstlane_b32 s3, v0
	s_cmp_eq_u32 s3, 0
	s_cbranch_scc1 .LBB3_179
; %bb.178:                              ;   in Loop: Header=BB3_180 Depth=1
	s_sleep 1
	s_cbranch_execnz .LBB3_180
	s_branch .LBB3_182
.LBB3_179:
	s_branch .LBB3_182
.LBB3_180:                              ; =>This Inner Loop Header: Depth=1
	v_mov_b32_e32 v0, 1
	s_and_saveexec_b32 s3, s2
	s_cbranch_execz .LBB3_177
; %bb.181:                              ;   in Loop: Header=BB3_180 Depth=1
	global_load_b32 v0, v[10:11], off offset:20 scope:SCOPE_SYS
	s_wait_loadcnt 0x0
	global_inv scope:SCOPE_SYS
	v_and_b32_e32 v0, 1, v0
	s_branch .LBB3_177
.LBB3_182:
	s_and_b32 exec_lo, exec_lo, s2
	s_cbranch_execz .LBB3_186
; %bb.183:
	v_mov_b32_e32 v6, 0
	s_clause 0x2
	global_load_b64 v[0:1], v6, s[4:5] offset:40
	global_load_b64 v[10:11], v6, s[4:5] offset:24 scope:SCOPE_SYS
	global_load_b64 v[2:3], v6, s[4:5]
	s_wait_loadcnt 0x2
	v_readfirstlane_b32 s10, v0
	v_readfirstlane_b32 s11, v1
	s_add_nc_u64 s[2:3], s[10:11], 1
	s_delay_alu instid0(SALU_CYCLE_1) | instskip(NEXT) | instid1(SALU_CYCLE_1)
	s_add_nc_u64 s[6:7], s[2:3], s[6:7]
	s_cmp_eq_u64 s[6:7], 0
	s_cselect_b32 s3, s3, s7
	s_cselect_b32 s2, s2, s6
	v_mov_b32_e32 v9, s3
	s_and_b64 s[6:7], s[2:3], s[10:11]
	v_mov_b32_e32 v8, s2
	s_mul_u64 s[6:7], s[6:7], 24
	s_wait_loadcnt 0x0
	v_add_nc_u64_e32 v[4:5], s[6:7], v[2:3]
	global_store_b64 v[4:5], v[10:11], off
	global_wb scope:SCOPE_SYS
	s_wait_storecnt 0x0
	s_wait_xcnt 0x0
	global_atomic_cmpswap_b64 v[2:3], v6, v[8:11], s[4:5] offset:24 th:TH_ATOMIC_RETURN scope:SCOPE_SYS
	s_wait_loadcnt 0x0
	v_cmp_ne_u64_e32 vcc_lo, v[2:3], v[10:11]
	s_and_b32 exec_lo, exec_lo, vcc_lo
	s_cbranch_execz .LBB3_186
; %bb.184:
	s_mov_b32 s6, 0
.LBB3_185:                              ; =>This Inner Loop Header: Depth=1
	v_dual_mov_b32 v0, s2 :: v_dual_mov_b32 v1, s3
	s_sleep 1
	global_store_b64 v[4:5], v[2:3], off
	global_wb scope:SCOPE_SYS
	s_wait_storecnt 0x0
	s_wait_xcnt 0x0
	global_atomic_cmpswap_b64 v[0:1], v6, v[0:3], s[4:5] offset:24 th:TH_ATOMIC_RETURN scope:SCOPE_SYS
	s_wait_loadcnt 0x0
	v_cmp_eq_u64_e32 vcc_lo, v[0:1], v[2:3]
	v_mov_b64_e32 v[2:3], v[0:1]
	s_or_b32 s6, vcc_lo, s6
	s_delay_alu instid0(SALU_CYCLE_1)
	s_and_not1_b32 exec_lo, exec_lo, s6
	s_cbranch_execnz .LBB3_185
.LBB3_186:
	s_or_b32 exec_lo, exec_lo, s18
	s_load_b96 s[4:6], s[0:1], 0x0
	v_and_b32_e32 v3, 15, v36
	s_wait_loadcnt 0x0
	s_wait_storecnt 0x0
	s_barrier_signal -1
	s_barrier_wait -1
	s_wait_kmcnt 0x0
	s_cmp_lt_i32 s6, 1
	s_cbranch_scc1 .LBB3_198
; %bb.187:
	s_cmp_lt_i32 s6, 2
	s_cbranch_scc1 .LBB3_199
; %bb.188:
	s_cmp_eq_u32 s6, 2
                                        ; implicit-def: $vgpr2
	s_cbranch_scc0 .LBB3_394
; %bb.189:
	v_mbcnt_lo_u32_b32 v2, -1, 0
	s_mov_b32 s0, exec_lo
	s_delay_alu instid0(VALU_DEP_1) | instskip(SKIP_1) | instid1(VALU_DEP_2)
	v_dual_mov_b32 v0, 0 :: v_dual_lshlrev_b32 v1, 20, v2
	v_dual_add_nc_u32 v6, -1, v2 :: v_dual_bitop2_b32 v4, 16, v2 bitop3:0x40
	v_add_nc_u64_e32 v[0:1], src_flat_scratch_base_lo, v[0:1]
	s_delay_alu instid0(VALU_DEP_2)
	v_cmp_lt_i32_e32 vcc_lo, v6, v4
	v_cndmask_b32_e32 v6, v6, v2, vcc_lo
	flat_store_b32 v[0:1], v3 scope:SCOPE_SYS
	s_wait_storecnt 0x0
	flat_load_b32 v5, v[0:1] scope:SCOPE_SYS
	s_wait_loadcnt 0x0
	v_lshlrev_b32_e32 v6, 2, v6
	s_wait_dscnt 0x0
	ds_bpermute_b32 v5, v6, v5
	s_wait_xcnt 0x0
	v_cmpx_ne_u32_e32 0, v3
	s_cbranch_execz .LBB3_191
; %bb.190:
	flat_load_b32 v6, v[0:1] scope:SCOPE_SYS
	s_wait_loadcnt_dscnt 0x0
	v_add_nc_u32_e32 v5, v6, v5
	flat_store_b32 v[0:1], v5 scope:SCOPE_SYS
	s_wait_storecnt 0x0
.LBB3_191:
	s_wait_xcnt 0x0
	s_or_b32 exec_lo, exec_lo, s0
	s_wait_dscnt 0x0
	flat_load_b32 v5, v[0:1] scope:SCOPE_SYS
	s_wait_loadcnt 0x0
	v_add_nc_u32_e32 v6, -2, v2
	s_mov_b32 s0, exec_lo
	s_delay_alu instid0(VALU_DEP_1) | instskip(SKIP_1) | instid1(VALU_DEP_1)
	v_cmp_lt_i32_e32 vcc_lo, v6, v4
	v_cndmask_b32_e32 v6, v6, v2, vcc_lo
	v_lshlrev_b32_e32 v6, 2, v6
	s_wait_dscnt 0x0
	ds_bpermute_b32 v5, v6, v5
	s_wait_xcnt 0x0
	v_cmpx_lt_u32_e32 1, v3
	s_cbranch_execz .LBB3_193
; %bb.192:
	flat_load_b32 v6, v[0:1] scope:SCOPE_SYS
	s_wait_loadcnt_dscnt 0x0
	v_add_nc_u32_e32 v5, v6, v5
	flat_store_b32 v[0:1], v5 scope:SCOPE_SYS
	s_wait_storecnt 0x0
.LBB3_193:
	s_wait_xcnt 0x0
	s_or_b32 exec_lo, exec_lo, s0
	s_wait_dscnt 0x0
	flat_load_b32 v5, v[0:1] scope:SCOPE_SYS
	s_wait_loadcnt 0x0
	v_add_nc_u32_e32 v6, -4, v2
	s_mov_b32 s0, exec_lo
	s_delay_alu instid0(VALU_DEP_1) | instskip(SKIP_1) | instid1(VALU_DEP_1)
	v_cmp_lt_i32_e32 vcc_lo, v6, v4
	v_cndmask_b32_e32 v6, v6, v2, vcc_lo
	v_lshlrev_b32_e32 v6, 2, v6
	s_wait_dscnt 0x0
	ds_bpermute_b32 v5, v6, v5
	s_wait_xcnt 0x0
	v_cmpx_lt_u32_e32 3, v3
	;; [unrolled: 23-line block ×3, first 2 shown]
	s_cbranch_execz .LBB3_197
; %bb.196:
	flat_load_b32 v4, v[0:1] scope:SCOPE_SYS
	s_wait_loadcnt_dscnt 0x0
	v_add_nc_u32_e32 v2, v4, v2
	flat_store_b32 v[0:1], v2 scope:SCOPE_SYS
	s_wait_storecnt 0x0
.LBB3_197:
	s_wait_xcnt 0x0
	s_or_b32 exec_lo, exec_lo, s0
	s_wait_dscnt 0x0
	flat_load_b32 v2, v[0:1] scope:SCOPE_SYS
	s_wait_loadcnt 0x0
	s_wait_dscnt 0x0
	global_store_b32 v36, v2, s[4:5] scale_offset
	s_cbranch_execz .LBB3_200
	s_branch .LBB3_201
.LBB3_198:
                                        ; implicit-def: $vgpr2
	s_branch .LBB3_202
.LBB3_199:
                                        ; implicit-def: $vgpr2
.LBB3_200:
	s_wait_xcnt 0x1
	v_mbcnt_lo_u32_b32 v0, -1, 0
	s_wait_xcnt 0x0
	s_delay_alu instid0(VALU_DEP_1) | instskip(SKIP_1) | instid1(VALU_DEP_1)
	v_xor_b32_e32 v2, 8, v0
	v_and_b32_e32 v1, 16, v0
	v_dual_add_nc_u32 v1, 16, v1 :: v_dual_bitop2_b32 v4, 4, v0 bitop3:0x14
	s_delay_alu instid0(VALU_DEP_1) | instskip(SKIP_1) | instid1(VALU_DEP_3)
	v_cmp_lt_i32_e32 vcc_lo, v2, v1
	v_cndmask_b32_e32 v2, v0, v2, vcc_lo
	v_cmp_lt_i32_e32 vcc_lo, v4, v1
	s_delay_alu instid0(VALU_DEP_2) | instskip(SKIP_4) | instid1(VALU_DEP_1)
	v_lshlrev_b32_e32 v2, 2, v2
	ds_bpermute_b32 v2, v2, v3
	s_wait_dscnt 0x0
	v_dual_cndmask_b32 v4, v0, v4, vcc_lo :: v_dual_add_nc_u32 v2, v2, v3
	v_xor_b32_e32 v5, 2, v0
	v_cmp_lt_i32_e32 vcc_lo, v5, v1
	s_delay_alu instid0(VALU_DEP_3)
	v_dual_cndmask_b32 v5, v0, v5 :: v_dual_lshlrev_b32 v4, 2, v4
	ds_bpermute_b32 v4, v4, v2
	s_wait_dscnt 0x0
	v_dual_add_nc_u32 v2, v4, v2 :: v_dual_lshlrev_b32 v5, 2, v5
	ds_bpermute_b32 v4, v5, v2
	v_xor_b32_e32 v5, 1, v0
	s_delay_alu instid0(VALU_DEP_1) | instskip(SKIP_3) | instid1(VALU_DEP_2)
	v_cmp_lt_i32_e32 vcc_lo, v5, v1
	v_cndmask_b32_e32 v0, v0, v5, vcc_lo
	v_cmp_eq_u32_e32 vcc_lo, 0, v3
	s_wait_dscnt 0x0
	v_dual_lshlrev_b32 v0, 2, v0 :: v_dual_add_nc_u32 v1, v4, v2
	ds_bpermute_b32 v0, v0, v1
	s_wait_dscnt 0x0
	v_add_nc_u32_e32 v0, v0, v1
	s_delay_alu instid0(VALU_DEP_1)
	v_cndmask_b32_e32 v2, -1, v0, vcc_lo
.LBB3_201:
	s_cbranch_execnz .LBB3_206
.LBB3_202:
	s_cmp_lg_u32 s6, 0
                                        ; implicit-def: $vgpr2
	s_cbranch_scc1 .LBB3_206
; %bb.203:
	s_wait_xcnt 0x0
	v_mbcnt_lo_u32_b32 v2, -1, 0
	s_mov_b32 s0, exec_lo
	s_delay_alu instid0(VALU_DEP_1) | instskip(SKIP_1) | instid1(VALU_DEP_2)
	v_dual_mov_b32 v0, 4 :: v_dual_lshlrev_b32 v1, 20, v2
	v_lshl_or_b32 v6, v2, 2, 32
	v_add_nc_u64_e32 v[0:1], src_flat_scratch_base_lo, v[0:1]
	flat_store_b32 v[0:1], v3 scope:SCOPE_SYS
	s_wait_storecnt 0x0
	flat_load_b32 v4, v[0:1] scope:SCOPE_SYS
	s_wait_loadcnt 0x0
	flat_load_b32 v5, v[0:1] scope:SCOPE_SYS
	s_wait_loadcnt_dscnt 0x1
	ds_bpermute_b32 v4, v6, v4
	v_and_b32_e32 v6, 15, v2
	s_delay_alu instid0(VALU_DEP_1) | instskip(SKIP_2) | instid1(VALU_DEP_2)
	v_cmp_gt_u32_e32 vcc_lo, 12, v6
	v_cndmask_b32_e64 v7, 0, 4, vcc_lo
	v_cmp_gt_u32_e32 vcc_lo, 14, v6
	v_add_lshl_u32 v7, v7, v2, 2
	s_wait_dscnt 0x0
	v_add_nc_u32_e32 v4, v5, v4
	flat_store_b32 v[0:1], v4 scope:SCOPE_SYS
	s_wait_storecnt 0x0
	flat_load_b32 v4, v[0:1] scope:SCOPE_SYS
	s_wait_loadcnt 0x0
	flat_load_b32 v5, v[0:1] scope:SCOPE_SYS
	s_wait_loadcnt_dscnt 0x1
	ds_bpermute_b32 v4, v7, v4
	v_cndmask_b32_e64 v7, 0, 2, vcc_lo
	v_cmp_ne_u32_e32 vcc_lo, 15, v6
	s_delay_alu instid0(VALU_DEP_2) | instskip(SKIP_2) | instid1(VALU_DEP_1)
	v_add_lshl_u32 v7, v7, v2, 2
	v_add_co_ci_u32_e64 v2, null, 0, v2, vcc_lo
	s_wait_dscnt 0x0
	v_dual_lshlrev_b32 v2, 2, v2 :: v_dual_add_nc_u32 v4, v5, v4
	flat_store_b32 v[0:1], v4 scope:SCOPE_SYS
	s_wait_storecnt 0x0
	flat_load_b32 v4, v[0:1] scope:SCOPE_SYS
	s_wait_loadcnt 0x0
	flat_load_b32 v5, v[0:1] scope:SCOPE_SYS
	s_wait_loadcnt_dscnt 0x1
	ds_bpermute_b32 v4, v7, v4
	s_wait_dscnt 0x0
	v_add_nc_u32_e32 v4, v5, v4
	flat_store_b32 v[0:1], v4 scope:SCOPE_SYS
	s_wait_storecnt 0x0
	flat_load_b32 v4, v[0:1] scope:SCOPE_SYS
	s_wait_loadcnt 0x0
	flat_load_b32 v5, v[0:1] scope:SCOPE_SYS
	s_wait_loadcnt_dscnt 0x1
	ds_bpermute_b32 v4, v2, v4
	s_wait_dscnt 0x0
	v_dual_mov_b32 v2, -1 :: v_dual_add_nc_u32 v4, v5, v4
	flat_store_b32 v[0:1], v4 scope:SCOPE_SYS
	s_wait_storecnt 0x0
	s_wait_xcnt 0x0
	v_cmpx_eq_u32_e32 0, v3
	s_cbranch_execz .LBB3_205
; %bb.204:
	flat_load_b32 v2, v[0:1] scope:SCOPE_SYS
	s_wait_loadcnt 0x0
.LBB3_205:
	s_wait_xcnt 0x0
	s_or_b32 exec_lo, exec_lo, s0
.LBB3_206:
	v_cmp_eq_u32_e32 vcc_lo, 0, v3
	s_cmp_lg_u32 s6, 2
	s_cselect_b32 s0, -1, 0
	s_delay_alu instid0(SALU_CYCLE_1)
	s_and_b32 s0, s0, vcc_lo
	s_wait_xcnt 0x0
	s_and_saveexec_b32 s1, s0
	s_cbranch_execz .LBB3_393
; %bb.207:
	s_load_b64 s[2:3], s[8:9], 0x50
	v_mbcnt_lo_u32_b32 v3, -1, 0
	v_mov_b64_e32 v[0:1], 0
	s_delay_alu instid0(VALU_DEP_2) | instskip(NEXT) | instid1(VALU_DEP_1)
	v_readfirstlane_b32 s0, v3
	v_cmp_eq_u32_e64 s0, s0, v3
	s_and_saveexec_b32 s1, s0
	s_cbranch_execz .LBB3_213
; %bb.208:
	v_mov_b32_e32 v4, 0
	s_mov_b32 s6, exec_lo
	s_wait_kmcnt 0x0
	global_load_b64 v[8:9], v4, s[2:3] offset:24 scope:SCOPE_SYS
	s_wait_loadcnt 0x0
	global_inv scope:SCOPE_SYS
	s_clause 0x1
	global_load_b64 v[0:1], v4, s[2:3] offset:40
	global_load_b64 v[6:7], v4, s[2:3]
	s_wait_loadcnt 0x1
	v_and_b32_e32 v0, v0, v8
	v_and_b32_e32 v1, v1, v9
	s_delay_alu instid0(VALU_DEP_1) | instskip(SKIP_1) | instid1(VALU_DEP_1)
	v_mul_u64_e32 v[0:1], 24, v[0:1]
	s_wait_loadcnt 0x0
	v_add_nc_u64_e32 v[0:1], v[6:7], v[0:1]
	global_load_b64 v[6:7], v[0:1], off scope:SCOPE_SYS
	s_wait_xcnt 0x0
	s_wait_loadcnt 0x0
	global_atomic_cmpswap_b64 v[0:1], v4, v[6:9], s[2:3] offset:24 th:TH_ATOMIC_RETURN scope:SCOPE_SYS
	s_wait_loadcnt 0x0
	global_inv scope:SCOPE_SYS
	s_wait_xcnt 0x0
	v_cmpx_ne_u64_e64 v[0:1], v[8:9]
	s_cbranch_execz .LBB3_212
; %bb.209:
	s_mov_b32 s7, 0
.LBB3_210:                              ; =>This Inner Loop Header: Depth=1
	s_sleep 1
	s_clause 0x1
	global_load_b64 v[6:7], v4, s[2:3] offset:40
	global_load_b64 v[10:11], v4, s[2:3]
	v_mov_b64_e32 v[8:9], v[0:1]
	s_wait_loadcnt 0x1
	s_delay_alu instid0(VALU_DEP_1) | instskip(NEXT) | instid1(VALU_DEP_2)
	v_and_b32_e32 v0, v6, v8
	v_and_b32_e32 v5, v7, v9
	s_wait_loadcnt 0x0
	s_delay_alu instid0(VALU_DEP_2) | instskip(NEXT) | instid1(VALU_DEP_1)
	v_mad_nc_u64_u32 v[0:1], v0, 24, v[10:11]
	v_mad_u32 v1, v5, 24, v1
	global_load_b64 v[6:7], v[0:1], off scope:SCOPE_SYS
	s_wait_xcnt 0x0
	s_wait_loadcnt 0x0
	global_atomic_cmpswap_b64 v[0:1], v4, v[6:9], s[2:3] offset:24 th:TH_ATOMIC_RETURN scope:SCOPE_SYS
	s_wait_loadcnt 0x0
	global_inv scope:SCOPE_SYS
	v_cmp_eq_u64_e32 vcc_lo, v[0:1], v[8:9]
	s_or_b32 s7, vcc_lo, s7
	s_wait_xcnt 0x0
	s_and_not1_b32 exec_lo, exec_lo, s7
	s_cbranch_execnz .LBB3_210
; %bb.211:
	s_or_b32 exec_lo, exec_lo, s7
.LBB3_212:
	s_delay_alu instid0(SALU_CYCLE_1)
	s_or_b32 exec_lo, exec_lo, s6
.LBB3_213:
	s_delay_alu instid0(SALU_CYCLE_1)
	s_or_b32 exec_lo, exec_lo, s1
	v_readfirstlane_b32 s6, v0
	v_mov_b32_e32 v5, 0
	v_readfirstlane_b32 s7, v1
	s_mov_b32 s1, exec_lo
	s_wait_kmcnt 0x0
	s_clause 0x1
	global_load_b64 v[6:7], v5, s[2:3] offset:40
	global_load_b128 v[8:11], v5, s[2:3]
	s_wait_loadcnt 0x1
	v_and_b32_e32 v12, s6, v6
	v_and_b32_e32 v13, s7, v7
	s_delay_alu instid0(VALU_DEP_1) | instskip(SKIP_1) | instid1(VALU_DEP_1)
	v_mul_u64_e32 v[0:1], 24, v[12:13]
	s_wait_loadcnt 0x0
	v_add_nc_u64_e32 v[0:1], v[8:9], v[0:1]
	s_wait_xcnt 0x0
	s_and_saveexec_b32 s8, s0
	s_cbranch_execz .LBB3_215
; %bb.214:
	v_mov_b64_e32 v[6:7], 0x100000002
	v_mov_b32_e32 v4, s1
	global_store_b128 v[0:1], v[4:7], off offset:8
.LBB3_215:
	s_wait_xcnt 0x0
	s_or_b32 exec_lo, exec_lo, s8
	v_lshlrev_b64_e32 v[6:7], 12, v[12:13]
	s_mov_b32 s8, 0
	v_dual_lshlrev_b32 v4, 6, v3 :: v_dual_mov_b32 v12, 33
	s_mov_b32 s10, s8
	s_mov_b32 s11, s8
	;; [unrolled: 1-line block ×3, first 2 shown]
	s_delay_alu instid0(VALU_DEP_2)
	v_add_nc_u64_e32 v[10:11], v[10:11], v[6:7]
	v_mov_b64_e32 v[18:19], s[10:11]
	v_mov_b64_e32 v[16:17], s[8:9]
	v_dual_mov_b32 v13, v5 :: v_dual_mov_b32 v14, v5
	v_mov_b32_e32 v15, v5
	v_readfirstlane_b32 s12, v10
	v_readfirstlane_b32 s13, v11
	s_clause 0x3
	global_store_b128 v4, v[12:15], s[12:13]
	global_store_b128 v4, v[16:19], s[12:13] offset:16
	global_store_b128 v4, v[16:19], s[12:13] offset:32
	;; [unrolled: 1-line block ×3, first 2 shown]
	s_wait_xcnt 0x0
	s_and_saveexec_b32 s1, s0
	s_cbranch_execz .LBB3_223
; %bb.216:
	v_dual_mov_b32 v14, 0 :: v_dual_mov_b32 v17, s7
	s_mov_b32 s8, exec_lo
	s_clause 0x1
	global_load_b64 v[18:19], v14, s[2:3] offset:32 scope:SCOPE_SYS
	global_load_b64 v[6:7], v14, s[2:3] offset:40
	s_wait_loadcnt 0x0
	v_dual_mov_b32 v16, s6 :: v_dual_bitop2_b32 v7, s7, v7 bitop3:0x40
	v_and_b32_e32 v6, s6, v6
	s_delay_alu instid0(VALU_DEP_1) | instskip(NEXT) | instid1(VALU_DEP_1)
	v_mul_u64_e32 v[6:7], 24, v[6:7]
	v_add_nc_u64_e32 v[12:13], v[8:9], v[6:7]
	global_store_b64 v[12:13], v[18:19], off
	global_wb scope:SCOPE_SYS
	s_wait_storecnt 0x0
	s_wait_xcnt 0x0
	global_atomic_cmpswap_b64 v[8:9], v14, v[16:19], s[2:3] offset:32 th:TH_ATOMIC_RETURN scope:SCOPE_SYS
	s_wait_loadcnt 0x0
	v_cmpx_ne_u64_e64 v[8:9], v[18:19]
	s_cbranch_execz .LBB3_219
; %bb.217:
	s_mov_b32 s9, 0
.LBB3_218:                              ; =>This Inner Loop Header: Depth=1
	v_dual_mov_b32 v6, s6 :: v_dual_mov_b32 v7, s7
	s_sleep 1
	global_store_b64 v[12:13], v[8:9], off
	global_wb scope:SCOPE_SYS
	s_wait_storecnt 0x0
	s_wait_xcnt 0x0
	global_atomic_cmpswap_b64 v[6:7], v14, v[6:9], s[2:3] offset:32 th:TH_ATOMIC_RETURN scope:SCOPE_SYS
	s_wait_loadcnt 0x0
	v_cmp_eq_u64_e32 vcc_lo, v[6:7], v[8:9]
	v_mov_b64_e32 v[8:9], v[6:7]
	s_or_b32 s9, vcc_lo, s9
	s_delay_alu instid0(SALU_CYCLE_1)
	s_and_not1_b32 exec_lo, exec_lo, s9
	s_cbranch_execnz .LBB3_218
.LBB3_219:
	s_or_b32 exec_lo, exec_lo, s8
	v_mov_b32_e32 v9, 0
	s_mov_b32 s9, exec_lo
	s_mov_b32 s8, exec_lo
	v_mbcnt_lo_u32_b32 v8, s9, 0
	global_load_b64 v[6:7], v9, s[2:3] offset:16
	s_wait_xcnt 0x0
	v_cmpx_eq_u32_e32 0, v8
	s_cbranch_execz .LBB3_221
; %bb.220:
	s_bcnt1_i32_b32 s9, s9
	s_delay_alu instid0(SALU_CYCLE_1)
	v_mov_b32_e32 v8, s9
	global_wb scope:SCOPE_SYS
	s_wait_loadcnt 0x0
	s_wait_storecnt 0x0
	global_atomic_add_u64 v[6:7], v[8:9], off offset:8 scope:SCOPE_SYS
.LBB3_221:
	s_wait_xcnt 0x0
	s_or_b32 exec_lo, exec_lo, s8
	s_wait_loadcnt 0x0
	global_load_b64 v[8:9], v[6:7], off offset:16
	s_wait_loadcnt 0x0
	v_cmp_eq_u64_e32 vcc_lo, 0, v[8:9]
	s_cbranch_vccnz .LBB3_223
; %bb.222:
	global_load_b32 v6, v[6:7], off offset:24
	s_wait_xcnt 0x0
	v_mov_b32_e32 v7, 0
	s_wait_loadcnt 0x0
	v_readfirstlane_b32 s8, v6
	global_wb scope:SCOPE_SYS
	s_wait_storecnt 0x0
	global_store_b64 v[8:9], v[6:7], off scope:SCOPE_SYS
	s_and_b32 m0, s8, 0xffffff
	s_sendmsg sendmsg(MSG_INTERRUPT)
.LBB3_223:
	s_wait_xcnt 0x0
	s_or_b32 exec_lo, exec_lo, s1
	v_add_nc_u64_e32 v[6:7], v[10:11], v[4:5]
	s_branch .LBB3_227
.LBB3_224:                              ;   in Loop: Header=BB3_227 Depth=1
	s_wait_xcnt 0x0
	s_or_b32 exec_lo, exec_lo, s1
	s_delay_alu instid0(VALU_DEP_1)
	v_readfirstlane_b32 s1, v5
	s_cmp_eq_u32 s1, 0
	s_cbranch_scc1 .LBB3_226
; %bb.225:                              ;   in Loop: Header=BB3_227 Depth=1
	s_sleep 1
	s_cbranch_execnz .LBB3_227
	s_branch .LBB3_229
.LBB3_226:
	s_branch .LBB3_229
.LBB3_227:                              ; =>This Inner Loop Header: Depth=1
	v_mov_b32_e32 v5, 1
	s_and_saveexec_b32 s1, s0
	s_cbranch_execz .LBB3_224
; %bb.228:                              ;   in Loop: Header=BB3_227 Depth=1
	global_load_b32 v5, v[0:1], off offset:20 scope:SCOPE_SYS
	s_wait_loadcnt 0x0
	global_inv scope:SCOPE_SYS
	v_and_b32_e32 v5, 1, v5
	s_branch .LBB3_224
.LBB3_229:
	global_load_b64 v[6:7], v[6:7], off
	s_wait_xcnt 0x0
	s_and_saveexec_b32 s8, s0
	s_cbranch_execz .LBB3_233
; %bb.230:
	v_mov_b32_e32 v5, 0
	s_clause 0x2
	global_load_b64 v[0:1], v5, s[2:3] offset:40
	global_load_b64 v[12:13], v5, s[2:3] offset:24 scope:SCOPE_SYS
	global_load_b64 v[8:9], v5, s[2:3]
	s_wait_loadcnt 0x2
	v_readfirstlane_b32 s10, v0
	v_readfirstlane_b32 s11, v1
	s_add_nc_u64 s[0:1], s[10:11], 1
	s_delay_alu instid0(SALU_CYCLE_1) | instskip(NEXT) | instid1(SALU_CYCLE_1)
	s_add_nc_u64 s[6:7], s[0:1], s[6:7]
	s_cmp_eq_u64 s[6:7], 0
	s_cselect_b32 s1, s1, s7
	s_cselect_b32 s0, s0, s6
	v_mov_b32_e32 v11, s1
	s_and_b64 s[6:7], s[0:1], s[10:11]
	v_mov_b32_e32 v10, s0
	s_mul_u64 s[6:7], s[6:7], 24
	s_wait_loadcnt 0x0
	v_add_nc_u64_e32 v[0:1], s[6:7], v[8:9]
	global_store_b64 v[0:1], v[12:13], off
	global_wb scope:SCOPE_SYS
	s_wait_storecnt 0x0
	s_wait_xcnt 0x0
	global_atomic_cmpswap_b64 v[10:11], v5, v[10:13], s[2:3] offset:24 th:TH_ATOMIC_RETURN scope:SCOPE_SYS
	s_wait_loadcnt 0x0
	v_cmp_ne_u64_e32 vcc_lo, v[10:11], v[12:13]
	s_and_b32 exec_lo, exec_lo, vcc_lo
	s_cbranch_execz .LBB3_233
; %bb.231:
	s_mov_b32 s6, 0
.LBB3_232:                              ; =>This Inner Loop Header: Depth=1
	v_dual_mov_b32 v8, s0 :: v_dual_mov_b32 v9, s1
	s_sleep 1
	global_store_b64 v[0:1], v[10:11], off
	global_wb scope:SCOPE_SYS
	s_wait_storecnt 0x0
	s_wait_xcnt 0x0
	global_atomic_cmpswap_b64 v[8:9], v5, v[8:11], s[2:3] offset:24 th:TH_ATOMIC_RETURN scope:SCOPE_SYS
	s_wait_loadcnt 0x0
	v_cmp_eq_u64_e32 vcc_lo, v[8:9], v[10:11]
	v_mov_b64_e32 v[10:11], v[8:9]
	s_or_b32 s6, vcc_lo, s6
	s_delay_alu instid0(SALU_CYCLE_1)
	s_and_not1_b32 exec_lo, exec_lo, s6
	s_cbranch_execnz .LBB3_232
.LBB3_233:
	s_or_b32 exec_lo, exec_lo, s8
	s_get_pc_i64 s[6:7]
	s_add_nc_u64 s[6:7], s[6:7], .str.1@rel64+4
	s_delay_alu instid0(SALU_CYCLE_1)
	s_cmp_lg_u64 s[6:7], 0
	s_cbranch_scc0 .LBB3_312
; %bb.234:
	v_mov_b64_e32 v[14:15], 0x100000002
	s_wait_loadcnt 0x0
	v_dual_mov_b32 v13, 0 :: v_dual_bitop2_b32 v0, 2, v6 bitop3:0x40
	v_dual_mov_b32 v9, v7 :: v_dual_bitop2_b32 v8, -3, v6 bitop3:0x40
	s_mov_b64 s[8:9], 58
	s_branch .LBB3_236
.LBB3_235:                              ;   in Loop: Header=BB3_236 Depth=1
	s_or_b32 exec_lo, exec_lo, s14
	s_sub_nc_u64 s[8:9], s[8:9], s[10:11]
	s_add_nc_u64 s[6:7], s[6:7], s[10:11]
	s_cmp_lg_u64 s[8:9], 0
	s_cbranch_scc0 .LBB3_311
.LBB3_236:                              ; =>This Loop Header: Depth=1
                                        ;     Child Loop BB3_239 Depth 2
                                        ;     Child Loop BB3_246 Depth 2
	;; [unrolled: 1-line block ×11, first 2 shown]
	v_min_u64 v[10:11], s[8:9], 56
	v_cmp_gt_u64_e64 s0, s[8:9], 7
	s_and_b32 vcc_lo, exec_lo, s0
	v_readfirstlane_b32 s10, v10
	v_readfirstlane_b32 s11, v11
	s_cbranch_vccnz .LBB3_241
; %bb.237:                              ;   in Loop: Header=BB3_236 Depth=1
	v_mov_b64_e32 v[10:11], 0
	s_cmp_eq_u64 s[8:9], 0
	s_cbranch_scc1 .LBB3_240
; %bb.238:                              ;   in Loop: Header=BB3_236 Depth=1
	s_mov_b64 s[0:1], 0
	s_mov_b64 s[12:13], 0
.LBB3_239:                              ;   Parent Loop BB3_236 Depth=1
                                        ; =>  This Inner Loop Header: Depth=2
	s_wait_xcnt 0x0
	s_add_nc_u64 s[14:15], s[6:7], s[12:13]
	s_add_nc_u64 s[12:13], s[12:13], 1
	global_load_u8 v1, v13, s[14:15]
	s_cmp_lg_u32 s10, s12
	s_wait_loadcnt 0x0
	v_and_b32_e32 v12, 0xffff, v1
	s_delay_alu instid0(VALU_DEP_1) | instskip(SKIP_1) | instid1(VALU_DEP_1)
	v_lshlrev_b64_e32 v[16:17], s0, v[12:13]
	s_add_nc_u64 s[0:1], s[0:1], 8
	v_or_b32_e32 v10, v16, v10
	s_delay_alu instid0(VALU_DEP_2)
	v_or_b32_e32 v11, v17, v11
	s_cbranch_scc1 .LBB3_239
.LBB3_240:                              ;   in Loop: Header=BB3_236 Depth=1
	s_mov_b64 s[12:13], s[6:7]
	s_mov_b32 s16, 0
	s_cbranch_execz .LBB3_242
	s_branch .LBB3_243
.LBB3_241:                              ;   in Loop: Header=BB3_236 Depth=1
	s_add_nc_u64 s[12:13], s[6:7], 8
	s_mov_b32 s16, 0
.LBB3_242:                              ;   in Loop: Header=BB3_236 Depth=1
	global_load_b64 v[10:11], v13, s[6:7]
	s_add_co_i32 s16, s10, -8
.LBB3_243:                              ;   in Loop: Header=BB3_236 Depth=1
	s_delay_alu instid0(SALU_CYCLE_1)
	s_cmp_gt_u32 s16, 7
	s_cbranch_scc1 .LBB3_248
; %bb.244:                              ;   in Loop: Header=BB3_236 Depth=1
	v_mov_b64_e32 v[16:17], 0
	s_cmp_eq_u32 s16, 0
	s_cbranch_scc1 .LBB3_247
; %bb.245:                              ;   in Loop: Header=BB3_236 Depth=1
	s_mov_b64 s[0:1], 0
	s_wait_xcnt 0x0
	s_mov_b64 s[14:15], 0
.LBB3_246:                              ;   Parent Loop BB3_236 Depth=1
                                        ; =>  This Inner Loop Header: Depth=2
	s_wait_xcnt 0x0
	s_add_nc_u64 s[18:19], s[12:13], s[14:15]
	s_add_nc_u64 s[14:15], s[14:15], 1
	global_load_u8 v1, v13, s[18:19]
	s_cmp_lg_u32 s16, s14
	s_wait_loadcnt 0x0
	v_and_b32_e32 v12, 0xffff, v1
	s_delay_alu instid0(VALU_DEP_1) | instskip(SKIP_1) | instid1(VALU_DEP_1)
	v_lshlrev_b64_e32 v[18:19], s0, v[12:13]
	s_add_nc_u64 s[0:1], s[0:1], 8
	v_or_b32_e32 v16, v18, v16
	s_delay_alu instid0(VALU_DEP_2)
	v_or_b32_e32 v17, v19, v17
	s_cbranch_scc1 .LBB3_246
.LBB3_247:                              ;   in Loop: Header=BB3_236 Depth=1
	s_wait_xcnt 0x0
	s_mov_b64 s[0:1], s[12:13]
	s_mov_b32 s17, 0
	s_cbranch_execz .LBB3_249
	s_branch .LBB3_250
.LBB3_248:                              ;   in Loop: Header=BB3_236 Depth=1
	s_add_nc_u64 s[0:1], s[12:13], 8
	s_wait_xcnt 0x0
                                        ; implicit-def: $vgpr16_vgpr17
	s_mov_b32 s17, 0
.LBB3_249:                              ;   in Loop: Header=BB3_236 Depth=1
	global_load_b64 v[16:17], v13, s[12:13]
	s_add_co_i32 s17, s16, -8
.LBB3_250:                              ;   in Loop: Header=BB3_236 Depth=1
	s_delay_alu instid0(SALU_CYCLE_1)
	s_cmp_gt_u32 s17, 7
	s_cbranch_scc1 .LBB3_255
; %bb.251:                              ;   in Loop: Header=BB3_236 Depth=1
	v_mov_b64_e32 v[18:19], 0
	s_cmp_eq_u32 s17, 0
	s_cbranch_scc1 .LBB3_254
; %bb.252:                              ;   in Loop: Header=BB3_236 Depth=1
	s_wait_xcnt 0x0
	s_mov_b64 s[12:13], 0
	s_mov_b64 s[14:15], 0
.LBB3_253:                              ;   Parent Loop BB3_236 Depth=1
                                        ; =>  This Inner Loop Header: Depth=2
	s_wait_xcnt 0x0
	s_add_nc_u64 s[18:19], s[0:1], s[14:15]
	s_add_nc_u64 s[14:15], s[14:15], 1
	global_load_u8 v1, v13, s[18:19]
	s_cmp_lg_u32 s17, s14
	s_wait_loadcnt 0x0
	v_and_b32_e32 v12, 0xffff, v1
	s_delay_alu instid0(VALU_DEP_1) | instskip(SKIP_1) | instid1(VALU_DEP_1)
	v_lshlrev_b64_e32 v[20:21], s12, v[12:13]
	s_add_nc_u64 s[12:13], s[12:13], 8
	v_or_b32_e32 v18, v20, v18
	s_delay_alu instid0(VALU_DEP_2)
	v_or_b32_e32 v19, v21, v19
	s_cbranch_scc1 .LBB3_253
.LBB3_254:                              ;   in Loop: Header=BB3_236 Depth=1
	s_wait_xcnt 0x0
	s_mov_b64 s[12:13], s[0:1]
	s_mov_b32 s16, 0
	s_cbranch_execz .LBB3_256
	s_branch .LBB3_257
.LBB3_255:                              ;   in Loop: Header=BB3_236 Depth=1
	s_wait_xcnt 0x0
	s_add_nc_u64 s[12:13], s[0:1], 8
	s_mov_b32 s16, 0
.LBB3_256:                              ;   in Loop: Header=BB3_236 Depth=1
	global_load_b64 v[18:19], v13, s[0:1]
	s_add_co_i32 s16, s17, -8
.LBB3_257:                              ;   in Loop: Header=BB3_236 Depth=1
	s_delay_alu instid0(SALU_CYCLE_1)
	s_cmp_gt_u32 s16, 7
	s_cbranch_scc1 .LBB3_262
; %bb.258:                              ;   in Loop: Header=BB3_236 Depth=1
	v_mov_b64_e32 v[20:21], 0
	s_cmp_eq_u32 s16, 0
	s_cbranch_scc1 .LBB3_261
; %bb.259:                              ;   in Loop: Header=BB3_236 Depth=1
	s_wait_xcnt 0x0
	s_mov_b64 s[0:1], 0
	s_mov_b64 s[14:15], 0
.LBB3_260:                              ;   Parent Loop BB3_236 Depth=1
                                        ; =>  This Inner Loop Header: Depth=2
	s_wait_xcnt 0x0
	s_add_nc_u64 s[18:19], s[12:13], s[14:15]
	s_add_nc_u64 s[14:15], s[14:15], 1
	global_load_u8 v1, v13, s[18:19]
	s_cmp_lg_u32 s16, s14
	s_wait_loadcnt 0x0
	v_and_b32_e32 v12, 0xffff, v1
	s_delay_alu instid0(VALU_DEP_1) | instskip(SKIP_1) | instid1(VALU_DEP_1)
	v_lshlrev_b64_e32 v[22:23], s0, v[12:13]
	s_add_nc_u64 s[0:1], s[0:1], 8
	v_or_b32_e32 v20, v22, v20
	s_delay_alu instid0(VALU_DEP_2)
	v_or_b32_e32 v21, v23, v21
	s_cbranch_scc1 .LBB3_260
.LBB3_261:                              ;   in Loop: Header=BB3_236 Depth=1
	s_wait_xcnt 0x0
	s_mov_b64 s[0:1], s[12:13]
	s_mov_b32 s17, 0
	s_cbranch_execz .LBB3_263
	s_branch .LBB3_264
.LBB3_262:                              ;   in Loop: Header=BB3_236 Depth=1
	s_wait_xcnt 0x0
	s_add_nc_u64 s[0:1], s[12:13], 8
                                        ; implicit-def: $vgpr20_vgpr21
	s_mov_b32 s17, 0
.LBB3_263:                              ;   in Loop: Header=BB3_236 Depth=1
	global_load_b64 v[20:21], v13, s[12:13]
	s_add_co_i32 s17, s16, -8
.LBB3_264:                              ;   in Loop: Header=BB3_236 Depth=1
	s_delay_alu instid0(SALU_CYCLE_1)
	s_cmp_gt_u32 s17, 7
	s_cbranch_scc1 .LBB3_269
; %bb.265:                              ;   in Loop: Header=BB3_236 Depth=1
	v_mov_b64_e32 v[22:23], 0
	s_cmp_eq_u32 s17, 0
	s_cbranch_scc1 .LBB3_268
; %bb.266:                              ;   in Loop: Header=BB3_236 Depth=1
	s_wait_xcnt 0x0
	s_mov_b64 s[12:13], 0
	s_mov_b64 s[14:15], 0
.LBB3_267:                              ;   Parent Loop BB3_236 Depth=1
                                        ; =>  This Inner Loop Header: Depth=2
	s_wait_xcnt 0x0
	s_add_nc_u64 s[18:19], s[0:1], s[14:15]
	s_add_nc_u64 s[14:15], s[14:15], 1
	global_load_u8 v1, v13, s[18:19]
	s_cmp_lg_u32 s17, s14
	s_wait_loadcnt 0x0
	v_and_b32_e32 v12, 0xffff, v1
	s_delay_alu instid0(VALU_DEP_1) | instskip(SKIP_1) | instid1(VALU_DEP_1)
	v_lshlrev_b64_e32 v[24:25], s12, v[12:13]
	s_add_nc_u64 s[12:13], s[12:13], 8
	v_or_b32_e32 v22, v24, v22
	s_delay_alu instid0(VALU_DEP_2)
	v_or_b32_e32 v23, v25, v23
	s_cbranch_scc1 .LBB3_267
.LBB3_268:                              ;   in Loop: Header=BB3_236 Depth=1
	s_wait_xcnt 0x0
	s_mov_b64 s[12:13], s[0:1]
	s_mov_b32 s16, 0
	s_cbranch_execz .LBB3_270
	s_branch .LBB3_271
.LBB3_269:                              ;   in Loop: Header=BB3_236 Depth=1
	s_wait_xcnt 0x0
	s_add_nc_u64 s[12:13], s[0:1], 8
	s_mov_b32 s16, 0
.LBB3_270:                              ;   in Loop: Header=BB3_236 Depth=1
	global_load_b64 v[22:23], v13, s[0:1]
	s_add_co_i32 s16, s17, -8
.LBB3_271:                              ;   in Loop: Header=BB3_236 Depth=1
	s_delay_alu instid0(SALU_CYCLE_1)
	s_cmp_gt_u32 s16, 7
	s_cbranch_scc1 .LBB3_276
; %bb.272:                              ;   in Loop: Header=BB3_236 Depth=1
	v_mov_b64_e32 v[24:25], 0
	s_cmp_eq_u32 s16, 0
	s_cbranch_scc1 .LBB3_275
; %bb.273:                              ;   in Loop: Header=BB3_236 Depth=1
	s_wait_xcnt 0x0
	s_mov_b64 s[0:1], 0
	s_mov_b64 s[14:15], 0
.LBB3_274:                              ;   Parent Loop BB3_236 Depth=1
                                        ; =>  This Inner Loop Header: Depth=2
	s_wait_xcnt 0x0
	s_add_nc_u64 s[18:19], s[12:13], s[14:15]
	s_add_nc_u64 s[14:15], s[14:15], 1
	global_load_u8 v1, v13, s[18:19]
	s_cmp_lg_u32 s16, s14
	s_wait_loadcnt 0x0
	v_and_b32_e32 v12, 0xffff, v1
	s_delay_alu instid0(VALU_DEP_1) | instskip(SKIP_1) | instid1(VALU_DEP_1)
	v_lshlrev_b64_e32 v[26:27], s0, v[12:13]
	s_add_nc_u64 s[0:1], s[0:1], 8
	v_or_b32_e32 v24, v26, v24
	s_delay_alu instid0(VALU_DEP_2)
	v_or_b32_e32 v25, v27, v25
	s_cbranch_scc1 .LBB3_274
.LBB3_275:                              ;   in Loop: Header=BB3_236 Depth=1
	s_wait_xcnt 0x0
	s_mov_b64 s[0:1], s[12:13]
	s_mov_b32 s17, 0
	s_cbranch_execz .LBB3_277
	s_branch .LBB3_278
.LBB3_276:                              ;   in Loop: Header=BB3_236 Depth=1
	s_wait_xcnt 0x0
	s_add_nc_u64 s[0:1], s[12:13], 8
                                        ; implicit-def: $vgpr24_vgpr25
	s_mov_b32 s17, 0
.LBB3_277:                              ;   in Loop: Header=BB3_236 Depth=1
	global_load_b64 v[24:25], v13, s[12:13]
	s_add_co_i32 s17, s16, -8
.LBB3_278:                              ;   in Loop: Header=BB3_236 Depth=1
	s_delay_alu instid0(SALU_CYCLE_1)
	s_cmp_gt_u32 s17, 7
	s_cbranch_scc1 .LBB3_283
; %bb.279:                              ;   in Loop: Header=BB3_236 Depth=1
	v_mov_b64_e32 v[26:27], 0
	s_cmp_eq_u32 s17, 0
	s_cbranch_scc1 .LBB3_282
; %bb.280:                              ;   in Loop: Header=BB3_236 Depth=1
	s_wait_xcnt 0x0
	s_mov_b64 s[12:13], 0
	s_mov_b64 s[14:15], s[0:1]
.LBB3_281:                              ;   Parent Loop BB3_236 Depth=1
                                        ; =>  This Inner Loop Header: Depth=2
	global_load_u8 v1, v13, s[14:15]
	s_add_co_i32 s17, s17, -1
	s_wait_xcnt 0x0
	s_add_nc_u64 s[14:15], s[14:15], 1
	s_cmp_lg_u32 s17, 0
	s_wait_loadcnt 0x0
	v_and_b32_e32 v12, 0xffff, v1
	s_delay_alu instid0(VALU_DEP_1) | instskip(SKIP_1) | instid1(VALU_DEP_1)
	v_lshlrev_b64_e32 v[28:29], s12, v[12:13]
	s_add_nc_u64 s[12:13], s[12:13], 8
	v_or_b32_e32 v26, v28, v26
	s_delay_alu instid0(VALU_DEP_2)
	v_or_b32_e32 v27, v29, v27
	s_cbranch_scc1 .LBB3_281
.LBB3_282:                              ;   in Loop: Header=BB3_236 Depth=1
	s_wait_xcnt 0x0
	s_cbranch_execz .LBB3_284
	s_branch .LBB3_285
.LBB3_283:                              ;   in Loop: Header=BB3_236 Depth=1
	s_wait_xcnt 0x0
.LBB3_284:                              ;   in Loop: Header=BB3_236 Depth=1
	global_load_b64 v[26:27], v13, s[0:1]
.LBB3_285:                              ;   in Loop: Header=BB3_236 Depth=1
	s_wait_xcnt 0x0
	v_readfirstlane_b32 s0, v3
	v_mov_b64_e32 v[32:33], 0
	s_delay_alu instid0(VALU_DEP_2)
	v_cmp_eq_u32_e64 s0, s0, v3
	s_and_saveexec_b32 s1, s0
	s_cbranch_execz .LBB3_291
; %bb.286:                              ;   in Loop: Header=BB3_236 Depth=1
	global_load_b64 v[30:31], v13, s[2:3] offset:24 scope:SCOPE_SYS
	s_wait_loadcnt 0x0
	global_inv scope:SCOPE_SYS
	s_clause 0x1
	global_load_b64 v[28:29], v13, s[2:3] offset:40
	global_load_b64 v[32:33], v13, s[2:3]
	s_mov_b32 s12, exec_lo
	s_wait_loadcnt 0x1
	v_and_b32_e32 v28, v28, v30
	v_and_b32_e32 v29, v29, v31
	s_delay_alu instid0(VALU_DEP_1) | instskip(SKIP_1) | instid1(VALU_DEP_1)
	v_mul_u64_e32 v[28:29], 24, v[28:29]
	s_wait_loadcnt 0x0
	v_add_nc_u64_e32 v[28:29], v[32:33], v[28:29]
	global_load_b64 v[28:29], v[28:29], off scope:SCOPE_SYS
	s_wait_xcnt 0x0
	s_wait_loadcnt 0x0
	global_atomic_cmpswap_b64 v[32:33], v13, v[28:31], s[2:3] offset:24 th:TH_ATOMIC_RETURN scope:SCOPE_SYS
	s_wait_loadcnt 0x0
	global_inv scope:SCOPE_SYS
	s_wait_xcnt 0x0
	v_cmpx_ne_u64_e64 v[32:33], v[30:31]
	s_cbranch_execz .LBB3_290
; %bb.287:                              ;   in Loop: Header=BB3_236 Depth=1
	s_mov_b32 s13, 0
.LBB3_288:                              ;   Parent Loop BB3_236 Depth=1
                                        ; =>  This Inner Loop Header: Depth=2
	s_sleep 1
	s_clause 0x1
	global_load_b64 v[28:29], v13, s[2:3] offset:40
	global_load_b64 v[34:35], v13, s[2:3]
	v_mov_b64_e32 v[30:31], v[32:33]
	s_wait_loadcnt 0x1
	s_delay_alu instid0(VALU_DEP_1) | instskip(SKIP_1) | instid1(VALU_DEP_1)
	v_and_b32_e32 v1, v28, v30
	s_wait_loadcnt 0x0
	v_mad_nc_u64_u32 v[32:33], v1, 24, v[34:35]
	s_delay_alu instid0(VALU_DEP_3) | instskip(NEXT) | instid1(VALU_DEP_1)
	v_and_b32_e32 v1, v29, v31
	v_mad_u32 v33, v1, 24, v33
	global_load_b64 v[28:29], v[32:33], off scope:SCOPE_SYS
	s_wait_xcnt 0x0
	s_wait_loadcnt 0x0
	global_atomic_cmpswap_b64 v[32:33], v13, v[28:31], s[2:3] offset:24 th:TH_ATOMIC_RETURN scope:SCOPE_SYS
	s_wait_loadcnt 0x0
	global_inv scope:SCOPE_SYS
	v_cmp_eq_u64_e32 vcc_lo, v[32:33], v[30:31]
	s_or_b32 s13, vcc_lo, s13
	s_wait_xcnt 0x0
	s_and_not1_b32 exec_lo, exec_lo, s13
	s_cbranch_execnz .LBB3_288
; %bb.289:                              ;   in Loop: Header=BB3_236 Depth=1
	s_or_b32 exec_lo, exec_lo, s13
.LBB3_290:                              ;   in Loop: Header=BB3_236 Depth=1
	s_delay_alu instid0(SALU_CYCLE_1)
	s_or_b32 exec_lo, exec_lo, s12
.LBB3_291:                              ;   in Loop: Header=BB3_236 Depth=1
	s_delay_alu instid0(SALU_CYCLE_1)
	s_or_b32 exec_lo, exec_lo, s1
	s_clause 0x1
	global_load_b64 v[34:35], v13, s[2:3] offset:40
	global_load_b128 v[28:31], v13, s[2:3]
	v_readfirstlane_b32 s12, v32
	v_readfirstlane_b32 s13, v33
	s_mov_b32 s1, exec_lo
	s_wait_loadcnt 0x1
	v_and_b32_e32 v34, s12, v34
	v_and_b32_e32 v35, s13, v35
	s_delay_alu instid0(VALU_DEP_1) | instskip(SKIP_1) | instid1(VALU_DEP_1)
	v_mul_u64_e32 v[32:33], 24, v[34:35]
	s_wait_loadcnt 0x0
	v_add_nc_u64_e32 v[32:33], v[28:29], v[32:33]
	s_wait_xcnt 0x0
	s_and_saveexec_b32 s14, s0
	s_cbranch_execz .LBB3_293
; %bb.292:                              ;   in Loop: Header=BB3_236 Depth=1
	v_mov_b32_e32 v12, s1
	global_store_b128 v[32:33], v[12:15], off offset:8
.LBB3_293:                              ;   in Loop: Header=BB3_236 Depth=1
	s_wait_xcnt 0x0
	s_or_b32 exec_lo, exec_lo, s14
	v_cmp_lt_u64_e64 vcc_lo, s[8:9], 57
	v_lshlrev_b64_e32 v[34:35], 12, v[34:35]
	v_and_b32_e32 v5, 0xffffff1f, v8
	s_lshl_b32 s1, s10, 2
	s_delay_alu instid0(SALU_CYCLE_1) | instskip(SKIP_1) | instid1(VALU_DEP_3)
	s_add_co_i32 s1, s1, 28
	v_cndmask_b32_e32 v1, 0, v0, vcc_lo
	v_add_nc_u64_e32 v[30:31], v[30:31], v[34:35]
	s_delay_alu instid0(VALU_DEP_2) | instskip(NEXT) | instid1(VALU_DEP_2)
	v_or_b32_e32 v1, v5, v1
	v_readfirstlane_b32 s14, v30
	s_delay_alu instid0(VALU_DEP_3) | instskip(NEXT) | instid1(VALU_DEP_3)
	v_readfirstlane_b32 s15, v31
	v_and_or_b32 v8, 0x1e0, s1, v1
	s_clause 0x3
	global_store_b128 v4, v[8:11], s[14:15]
	global_store_b128 v4, v[16:19], s[14:15] offset:16
	global_store_b128 v4, v[20:23], s[14:15] offset:32
	;; [unrolled: 1-line block ×3, first 2 shown]
	s_wait_xcnt 0x0
	s_and_saveexec_b32 s1, s0
	s_cbranch_execz .LBB3_301
; %bb.294:                              ;   in Loop: Header=BB3_236 Depth=1
	s_clause 0x1
	global_load_b64 v[20:21], v13, s[2:3] offset:32 scope:SCOPE_SYS
	global_load_b64 v[8:9], v13, s[2:3] offset:40
	s_mov_b32 s14, exec_lo
	v_dual_mov_b32 v18, s12 :: v_dual_mov_b32 v19, s13
	s_wait_loadcnt 0x0
	v_and_b32_e32 v9, s13, v9
	v_and_b32_e32 v8, s12, v8
	s_delay_alu instid0(VALU_DEP_1) | instskip(NEXT) | instid1(VALU_DEP_1)
	v_mul_u64_e32 v[8:9], 24, v[8:9]
	v_add_nc_u64_e32 v[16:17], v[28:29], v[8:9]
	global_store_b64 v[16:17], v[20:21], off
	global_wb scope:SCOPE_SYS
	s_wait_storecnt 0x0
	s_wait_xcnt 0x0
	global_atomic_cmpswap_b64 v[10:11], v13, v[18:21], s[2:3] offset:32 th:TH_ATOMIC_RETURN scope:SCOPE_SYS
	s_wait_loadcnt 0x0
	v_cmpx_ne_u64_e64 v[10:11], v[20:21]
	s_cbranch_execz .LBB3_297
; %bb.295:                              ;   in Loop: Header=BB3_236 Depth=1
	s_mov_b32 s15, 0
.LBB3_296:                              ;   Parent Loop BB3_236 Depth=1
                                        ; =>  This Inner Loop Header: Depth=2
	v_dual_mov_b32 v8, s12 :: v_dual_mov_b32 v9, s13
	s_sleep 1
	global_store_b64 v[16:17], v[10:11], off
	global_wb scope:SCOPE_SYS
	s_wait_storecnt 0x0
	s_wait_xcnt 0x0
	global_atomic_cmpswap_b64 v[8:9], v13, v[8:11], s[2:3] offset:32 th:TH_ATOMIC_RETURN scope:SCOPE_SYS
	s_wait_loadcnt 0x0
	v_cmp_eq_u64_e32 vcc_lo, v[8:9], v[10:11]
	v_mov_b64_e32 v[10:11], v[8:9]
	s_or_b32 s15, vcc_lo, s15
	s_delay_alu instid0(SALU_CYCLE_1)
	s_and_not1_b32 exec_lo, exec_lo, s15
	s_cbranch_execnz .LBB3_296
.LBB3_297:                              ;   in Loop: Header=BB3_236 Depth=1
	s_or_b32 exec_lo, exec_lo, s14
	global_load_b64 v[8:9], v13, s[2:3] offset:16
	s_mov_b32 s15, exec_lo
	s_mov_b32 s14, exec_lo
	v_mbcnt_lo_u32_b32 v1, s15, 0
	s_wait_xcnt 0x0
	s_delay_alu instid0(VALU_DEP_1)
	v_cmpx_eq_u32_e32 0, v1
	s_cbranch_execz .LBB3_299
; %bb.298:                              ;   in Loop: Header=BB3_236 Depth=1
	s_bcnt1_i32_b32 s15, s15
	s_delay_alu instid0(SALU_CYCLE_1)
	v_mov_b32_e32 v12, s15
	global_wb scope:SCOPE_SYS
	s_wait_loadcnt 0x0
	s_wait_storecnt 0x0
	global_atomic_add_u64 v[8:9], v[12:13], off offset:8 scope:SCOPE_SYS
.LBB3_299:                              ;   in Loop: Header=BB3_236 Depth=1
	s_wait_xcnt 0x0
	s_or_b32 exec_lo, exec_lo, s14
	s_wait_loadcnt 0x0
	global_load_b64 v[10:11], v[8:9], off offset:16
	s_wait_loadcnt 0x0
	v_cmp_eq_u64_e32 vcc_lo, 0, v[10:11]
	s_cbranch_vccnz .LBB3_301
; %bb.300:                              ;   in Loop: Header=BB3_236 Depth=1
	global_load_b32 v12, v[8:9], off offset:24
	s_wait_loadcnt 0x0
	v_readfirstlane_b32 s14, v12
	global_wb scope:SCOPE_SYS
	s_wait_storecnt 0x0
	s_wait_xcnt 0x0
	global_store_b64 v[10:11], v[12:13], off scope:SCOPE_SYS
	s_and_b32 m0, s14, 0xffffff
	s_sendmsg sendmsg(MSG_INTERRUPT)
.LBB3_301:                              ;   in Loop: Header=BB3_236 Depth=1
	s_wait_xcnt 0x0
	s_or_b32 exec_lo, exec_lo, s1
	v_mov_b32_e32 v5, v13
	s_delay_alu instid0(VALU_DEP_1)
	v_add_nc_u64_e32 v[8:9], v[30:31], v[4:5]
	s_branch .LBB3_305
.LBB3_302:                              ;   in Loop: Header=BB3_305 Depth=2
	s_wait_xcnt 0x0
	s_or_b32 exec_lo, exec_lo, s1
	s_delay_alu instid0(VALU_DEP_1)
	v_readfirstlane_b32 s1, v1
	s_cmp_eq_u32 s1, 0
	s_cbranch_scc1 .LBB3_304
; %bb.303:                              ;   in Loop: Header=BB3_305 Depth=2
	s_sleep 1
	s_cbranch_execnz .LBB3_305
	s_branch .LBB3_307
.LBB3_304:                              ;   in Loop: Header=BB3_236 Depth=1
	s_branch .LBB3_307
.LBB3_305:                              ;   Parent Loop BB3_236 Depth=1
                                        ; =>  This Inner Loop Header: Depth=2
	v_mov_b32_e32 v1, 1
	s_and_saveexec_b32 s1, s0
	s_cbranch_execz .LBB3_302
; %bb.306:                              ;   in Loop: Header=BB3_305 Depth=2
	global_load_b32 v1, v[32:33], off offset:20 scope:SCOPE_SYS
	s_wait_loadcnt 0x0
	global_inv scope:SCOPE_SYS
	v_and_b32_e32 v1, 1, v1
	s_branch .LBB3_302
.LBB3_307:                              ;   in Loop: Header=BB3_236 Depth=1
	global_load_b64 v[8:9], v[8:9], off
	s_wait_xcnt 0x0
	s_and_saveexec_b32 s14, s0
	s_cbranch_execz .LBB3_235
; %bb.308:                              ;   in Loop: Header=BB3_236 Depth=1
	s_clause 0x2
	global_load_b64 v[10:11], v13, s[2:3] offset:40
	global_load_b64 v[20:21], v13, s[2:3] offset:24 scope:SCOPE_SYS
	global_load_b64 v[16:17], v13, s[2:3]
	s_wait_loadcnt 0x2
	v_readfirstlane_b32 s16, v10
	v_readfirstlane_b32 s17, v11
	s_add_nc_u64 s[0:1], s[16:17], 1
	s_delay_alu instid0(SALU_CYCLE_1) | instskip(NEXT) | instid1(SALU_CYCLE_1)
	s_add_nc_u64 s[12:13], s[0:1], s[12:13]
	s_cmp_eq_u64 s[12:13], 0
	s_cselect_b32 s1, s1, s13
	s_cselect_b32 s0, s0, s12
	s_delay_alu instid0(SALU_CYCLE_1) | instskip(SKIP_1) | instid1(SALU_CYCLE_1)
	v_dual_mov_b32 v19, s1 :: v_dual_mov_b32 v18, s0
	s_and_b64 s[12:13], s[0:1], s[16:17]
	s_mul_u64 s[12:13], s[12:13], 24
	s_wait_loadcnt 0x0
	v_add_nc_u64_e32 v[10:11], s[12:13], v[16:17]
	global_store_b64 v[10:11], v[20:21], off
	global_wb scope:SCOPE_SYS
	s_wait_storecnt 0x0
	s_wait_xcnt 0x0
	global_atomic_cmpswap_b64 v[18:19], v13, v[18:21], s[2:3] offset:24 th:TH_ATOMIC_RETURN scope:SCOPE_SYS
	s_wait_loadcnt 0x0
	v_cmp_ne_u64_e32 vcc_lo, v[18:19], v[20:21]
	s_and_b32 exec_lo, exec_lo, vcc_lo
	s_cbranch_execz .LBB3_235
; %bb.309:                              ;   in Loop: Header=BB3_236 Depth=1
	s_mov_b32 s12, 0
.LBB3_310:                              ;   Parent Loop BB3_236 Depth=1
                                        ; =>  This Inner Loop Header: Depth=2
	v_dual_mov_b32 v16, s0 :: v_dual_mov_b32 v17, s1
	s_sleep 1
	global_store_b64 v[10:11], v[18:19], off
	global_wb scope:SCOPE_SYS
	s_wait_storecnt 0x0
	s_wait_xcnt 0x0
	global_atomic_cmpswap_b64 v[16:17], v13, v[16:19], s[2:3] offset:24 th:TH_ATOMIC_RETURN scope:SCOPE_SYS
	s_wait_loadcnt 0x0
	v_cmp_eq_u64_e32 vcc_lo, v[16:17], v[18:19]
	v_mov_b64_e32 v[18:19], v[16:17]
	s_or_b32 s12, vcc_lo, s12
	s_delay_alu instid0(SALU_CYCLE_1)
	s_and_not1_b32 exec_lo, exec_lo, s12
	s_cbranch_execnz .LBB3_310
	s_branch .LBB3_235
.LBB3_311:
	s_branch .LBB3_340
.LBB3_312:
                                        ; implicit-def: $vgpr8_vgpr9
	s_cbranch_execz .LBB3_340
; %bb.313:
	v_readfirstlane_b32 s0, v3
	v_mov_b64_e32 v[0:1], 0
	s_delay_alu instid0(VALU_DEP_2)
	v_cmp_eq_u32_e64 s0, s0, v3
	s_and_saveexec_b32 s1, s0
	s_cbranch_execz .LBB3_319
; %bb.314:
	v_mov_b32_e32 v5, 0
	s_mov_b32 s6, exec_lo
	global_load_b64 v[10:11], v5, s[2:3] offset:24 scope:SCOPE_SYS
	s_wait_loadcnt 0x0
	global_inv scope:SCOPE_SYS
	s_clause 0x1
	global_load_b64 v[0:1], v5, s[2:3] offset:40
	global_load_b64 v[8:9], v5, s[2:3]
	s_wait_loadcnt 0x1
	v_and_b32_e32 v0, v0, v10
	v_and_b32_e32 v1, v1, v11
	s_delay_alu instid0(VALU_DEP_1) | instskip(SKIP_1) | instid1(VALU_DEP_1)
	v_mul_u64_e32 v[0:1], 24, v[0:1]
	s_wait_loadcnt 0x0
	v_add_nc_u64_e32 v[0:1], v[8:9], v[0:1]
	global_load_b64 v[8:9], v[0:1], off scope:SCOPE_SYS
	s_wait_xcnt 0x0
	s_wait_loadcnt 0x0
	global_atomic_cmpswap_b64 v[0:1], v5, v[8:11], s[2:3] offset:24 th:TH_ATOMIC_RETURN scope:SCOPE_SYS
	s_wait_loadcnt 0x0
	global_inv scope:SCOPE_SYS
	s_wait_xcnt 0x0
	v_cmpx_ne_u64_e64 v[0:1], v[10:11]
	s_cbranch_execz .LBB3_318
; %bb.315:
	s_mov_b32 s7, 0
.LBB3_316:                              ; =>This Inner Loop Header: Depth=1
	s_sleep 1
	s_clause 0x1
	global_load_b64 v[8:9], v5, s[2:3] offset:40
	global_load_b64 v[12:13], v5, s[2:3]
	v_mov_b64_e32 v[10:11], v[0:1]
	s_wait_loadcnt 0x1
	s_delay_alu instid0(VALU_DEP_1) | instskip(NEXT) | instid1(VALU_DEP_2)
	v_and_b32_e32 v0, v8, v10
	v_and_b32_e32 v8, v9, v11
	s_wait_loadcnt 0x0
	s_delay_alu instid0(VALU_DEP_2) | instskip(NEXT) | instid1(VALU_DEP_1)
	v_mad_nc_u64_u32 v[0:1], v0, 24, v[12:13]
	v_mad_u32 v1, v8, 24, v1
	global_load_b64 v[8:9], v[0:1], off scope:SCOPE_SYS
	s_wait_xcnt 0x0
	s_wait_loadcnt 0x0
	global_atomic_cmpswap_b64 v[0:1], v5, v[8:11], s[2:3] offset:24 th:TH_ATOMIC_RETURN scope:SCOPE_SYS
	s_wait_loadcnt 0x0
	global_inv scope:SCOPE_SYS
	v_cmp_eq_u64_e32 vcc_lo, v[0:1], v[10:11]
	s_or_b32 s7, vcc_lo, s7
	s_wait_xcnt 0x0
	s_and_not1_b32 exec_lo, exec_lo, s7
	s_cbranch_execnz .LBB3_316
; %bb.317:
	s_or_b32 exec_lo, exec_lo, s7
.LBB3_318:
	s_delay_alu instid0(SALU_CYCLE_1)
	s_or_b32 exec_lo, exec_lo, s6
.LBB3_319:
	s_delay_alu instid0(SALU_CYCLE_1)
	s_or_b32 exec_lo, exec_lo, s1
	v_readfirstlane_b32 s6, v0
	v_mov_b32_e32 v5, 0
	v_readfirstlane_b32 s7, v1
	s_mov_b32 s1, exec_lo
	s_wait_loadcnt 0x0
	s_clause 0x1
	global_load_b64 v[8:9], v5, s[2:3] offset:40
	global_load_b128 v[10:13], v5, s[2:3]
	s_wait_loadcnt 0x1
	v_and_b32_e32 v8, s6, v8
	v_and_b32_e32 v9, s7, v9
	s_delay_alu instid0(VALU_DEP_1) | instskip(SKIP_1) | instid1(VALU_DEP_1)
	v_mul_u64_e32 v[0:1], 24, v[8:9]
	s_wait_loadcnt 0x0
	v_add_nc_u64_e32 v[0:1], v[10:11], v[0:1]
	s_wait_xcnt 0x0
	s_and_saveexec_b32 s8, s0
	s_cbranch_execz .LBB3_321
; %bb.320:
	v_mov_b64_e32 v[16:17], 0x100000002
	v_dual_mov_b32 v14, s1 :: v_dual_mov_b32 v15, v5
	global_store_b128 v[0:1], v[14:17], off offset:8
.LBB3_321:
	s_wait_xcnt 0x0
	s_or_b32 exec_lo, exec_lo, s8
	v_lshlrev_b64_e32 v[8:9], 12, v[8:9]
	s_mov_b32 s8, 0
	v_and_or_b32 v6, 0xffffff1f, v6, 32
	s_mov_b32 s10, s8
	s_mov_b32 s11, s8
	;; [unrolled: 1-line block ×3, first 2 shown]
	v_mov_b64_e32 v[16:17], s[10:11]
	v_add_nc_u64_e32 v[12:13], v[12:13], v[8:9]
	v_mov_b64_e32 v[14:15], s[8:9]
	v_dual_mov_b32 v8, v5 :: v_dual_mov_b32 v9, v5
	s_delay_alu instid0(VALU_DEP_3) | instskip(NEXT) | instid1(VALU_DEP_4)
	v_readfirstlane_b32 s12, v12
	v_readfirstlane_b32 s13, v13
	s_clause 0x3
	global_store_b128 v4, v[6:9], s[12:13]
	global_store_b128 v4, v[14:17], s[12:13] offset:16
	global_store_b128 v4, v[14:17], s[12:13] offset:32
	;; [unrolled: 1-line block ×3, first 2 shown]
	s_wait_xcnt 0x0
	s_and_saveexec_b32 s1, s0
	s_cbranch_execz .LBB3_329
; %bb.322:
	v_dual_mov_b32 v14, 0 :: v_dual_mov_b32 v17, s7
	s_mov_b32 s8, exec_lo
	s_clause 0x1
	global_load_b64 v[18:19], v14, s[2:3] offset:32 scope:SCOPE_SYS
	global_load_b64 v[6:7], v14, s[2:3] offset:40
	s_wait_loadcnt 0x0
	v_dual_mov_b32 v16, s6 :: v_dual_bitop2_b32 v7, s7, v7 bitop3:0x40
	v_and_b32_e32 v6, s6, v6
	s_delay_alu instid0(VALU_DEP_1) | instskip(NEXT) | instid1(VALU_DEP_1)
	v_mul_u64_e32 v[6:7], 24, v[6:7]
	v_add_nc_u64_e32 v[10:11], v[10:11], v[6:7]
	global_store_b64 v[10:11], v[18:19], off
	global_wb scope:SCOPE_SYS
	s_wait_storecnt 0x0
	s_wait_xcnt 0x0
	global_atomic_cmpswap_b64 v[8:9], v14, v[16:19], s[2:3] offset:32 th:TH_ATOMIC_RETURN scope:SCOPE_SYS
	s_wait_loadcnt 0x0
	v_cmpx_ne_u64_e64 v[8:9], v[18:19]
	s_cbranch_execz .LBB3_325
; %bb.323:
	s_mov_b32 s9, 0
.LBB3_324:                              ; =>This Inner Loop Header: Depth=1
	v_dual_mov_b32 v6, s6 :: v_dual_mov_b32 v7, s7
	s_sleep 1
	global_store_b64 v[10:11], v[8:9], off
	global_wb scope:SCOPE_SYS
	s_wait_storecnt 0x0
	s_wait_xcnt 0x0
	global_atomic_cmpswap_b64 v[6:7], v14, v[6:9], s[2:3] offset:32 th:TH_ATOMIC_RETURN scope:SCOPE_SYS
	s_wait_loadcnt 0x0
	v_cmp_eq_u64_e32 vcc_lo, v[6:7], v[8:9]
	v_mov_b64_e32 v[8:9], v[6:7]
	s_or_b32 s9, vcc_lo, s9
	s_delay_alu instid0(SALU_CYCLE_1)
	s_and_not1_b32 exec_lo, exec_lo, s9
	s_cbranch_execnz .LBB3_324
.LBB3_325:
	s_or_b32 exec_lo, exec_lo, s8
	v_mov_b32_e32 v9, 0
	s_mov_b32 s9, exec_lo
	s_mov_b32 s8, exec_lo
	v_mbcnt_lo_u32_b32 v8, s9, 0
	global_load_b64 v[6:7], v9, s[2:3] offset:16
	s_wait_xcnt 0x0
	v_cmpx_eq_u32_e32 0, v8
	s_cbranch_execz .LBB3_327
; %bb.326:
	s_bcnt1_i32_b32 s9, s9
	s_delay_alu instid0(SALU_CYCLE_1)
	v_mov_b32_e32 v8, s9
	global_wb scope:SCOPE_SYS
	s_wait_loadcnt 0x0
	s_wait_storecnt 0x0
	global_atomic_add_u64 v[6:7], v[8:9], off offset:8 scope:SCOPE_SYS
.LBB3_327:
	s_wait_xcnt 0x0
	s_or_b32 exec_lo, exec_lo, s8
	s_wait_loadcnt 0x0
	global_load_b64 v[8:9], v[6:7], off offset:16
	s_wait_loadcnt 0x0
	v_cmp_eq_u64_e32 vcc_lo, 0, v[8:9]
	s_cbranch_vccnz .LBB3_329
; %bb.328:
	global_load_b32 v6, v[6:7], off offset:24
	s_wait_xcnt 0x0
	v_mov_b32_e32 v7, 0
	s_wait_loadcnt 0x0
	v_readfirstlane_b32 s8, v6
	global_wb scope:SCOPE_SYS
	s_wait_storecnt 0x0
	global_store_b64 v[8:9], v[6:7], off scope:SCOPE_SYS
	s_and_b32 m0, s8, 0xffffff
	s_sendmsg sendmsg(MSG_INTERRUPT)
.LBB3_329:
	s_wait_xcnt 0x0
	s_or_b32 exec_lo, exec_lo, s1
	v_add_nc_u64_e32 v[6:7], v[12:13], v[4:5]
	s_branch .LBB3_333
.LBB3_330:                              ;   in Loop: Header=BB3_333 Depth=1
	s_wait_xcnt 0x0
	s_or_b32 exec_lo, exec_lo, s1
	s_delay_alu instid0(VALU_DEP_1)
	v_readfirstlane_b32 s1, v5
	s_cmp_eq_u32 s1, 0
	s_cbranch_scc1 .LBB3_332
; %bb.331:                              ;   in Loop: Header=BB3_333 Depth=1
	s_sleep 1
	s_cbranch_execnz .LBB3_333
	s_branch .LBB3_335
.LBB3_332:
	s_branch .LBB3_335
.LBB3_333:                              ; =>This Inner Loop Header: Depth=1
	v_mov_b32_e32 v5, 1
	s_and_saveexec_b32 s1, s0
	s_cbranch_execz .LBB3_330
; %bb.334:                              ;   in Loop: Header=BB3_333 Depth=1
	global_load_b32 v5, v[0:1], off offset:20 scope:SCOPE_SYS
	s_wait_loadcnt 0x0
	global_inv scope:SCOPE_SYS
	v_and_b32_e32 v5, 1, v5
	s_branch .LBB3_330
.LBB3_335:
	global_load_b64 v[8:9], v[6:7], off
	s_wait_xcnt 0x0
	s_and_saveexec_b32 s8, s0
	s_cbranch_execz .LBB3_339
; %bb.336:
	v_mov_b32_e32 v5, 0
	s_clause 0x2
	global_load_b64 v[0:1], v5, s[2:3] offset:40
	global_load_b64 v[14:15], v5, s[2:3] offset:24 scope:SCOPE_SYS
	global_load_b64 v[6:7], v5, s[2:3]
	s_wait_loadcnt 0x2
	v_readfirstlane_b32 s10, v0
	v_readfirstlane_b32 s11, v1
	s_add_nc_u64 s[0:1], s[10:11], 1
	s_delay_alu instid0(SALU_CYCLE_1) | instskip(NEXT) | instid1(SALU_CYCLE_1)
	s_add_nc_u64 s[6:7], s[0:1], s[6:7]
	s_cmp_eq_u64 s[6:7], 0
	s_cselect_b32 s1, s1, s7
	s_cselect_b32 s0, s0, s6
	v_mov_b32_e32 v13, s1
	s_and_b64 s[6:7], s[0:1], s[10:11]
	v_mov_b32_e32 v12, s0
	s_mul_u64 s[6:7], s[6:7], 24
	s_wait_loadcnt 0x0
	v_add_nc_u64_e32 v[0:1], s[6:7], v[6:7]
	global_store_b64 v[0:1], v[14:15], off
	global_wb scope:SCOPE_SYS
	s_wait_storecnt 0x0
	s_wait_xcnt 0x0
	global_atomic_cmpswap_b64 v[12:13], v5, v[12:15], s[2:3] offset:24 th:TH_ATOMIC_RETURN scope:SCOPE_SYS
	s_wait_loadcnt 0x0
	v_cmp_ne_u64_e32 vcc_lo, v[12:13], v[14:15]
	s_and_b32 exec_lo, exec_lo, vcc_lo
	s_cbranch_execz .LBB3_339
; %bb.337:
	s_mov_b32 s6, 0
.LBB3_338:                              ; =>This Inner Loop Header: Depth=1
	v_dual_mov_b32 v10, s0 :: v_dual_mov_b32 v11, s1
	s_sleep 1
	global_store_b64 v[0:1], v[12:13], off
	global_wb scope:SCOPE_SYS
	s_wait_storecnt 0x0
	s_wait_xcnt 0x0
	global_atomic_cmpswap_b64 v[6:7], v5, v[10:13], s[2:3] offset:24 th:TH_ATOMIC_RETURN scope:SCOPE_SYS
	s_wait_loadcnt 0x0
	v_cmp_eq_u64_e32 vcc_lo, v[6:7], v[12:13]
	v_mov_b64_e32 v[12:13], v[6:7]
	s_or_b32 s6, vcc_lo, s6
	s_delay_alu instid0(SALU_CYCLE_1)
	s_and_not1_b32 exec_lo, exec_lo, s6
	s_cbranch_execnz .LBB3_338
.LBB3_339:
	s_or_b32 exec_lo, exec_lo, s8
.LBB3_340:
	v_readfirstlane_b32 s0, v3
	v_mov_b64_e32 v[0:1], 0
	s_delay_alu instid0(VALU_DEP_2)
	v_cmp_eq_u32_e64 s0, s0, v3
	s_and_saveexec_b32 s1, s0
	s_cbranch_execz .LBB3_346
; %bb.341:
	v_mov_b32_e32 v5, 0
	s_mov_b32 s6, exec_lo
	global_load_b64 v[12:13], v5, s[2:3] offset:24 scope:SCOPE_SYS
	s_wait_loadcnt 0x0
	global_inv scope:SCOPE_SYS
	s_clause 0x1
	global_load_b64 v[0:1], v5, s[2:3] offset:40
	global_load_b64 v[6:7], v5, s[2:3]
	s_wait_loadcnt 0x1
	v_and_b32_e32 v0, v0, v12
	v_and_b32_e32 v1, v1, v13
	s_delay_alu instid0(VALU_DEP_1) | instskip(SKIP_1) | instid1(VALU_DEP_1)
	v_mul_u64_e32 v[0:1], 24, v[0:1]
	s_wait_loadcnt 0x0
	v_add_nc_u64_e32 v[0:1], v[6:7], v[0:1]
	global_load_b64 v[10:11], v[0:1], off scope:SCOPE_SYS
	s_wait_xcnt 0x0
	s_wait_loadcnt 0x0
	global_atomic_cmpswap_b64 v[0:1], v5, v[10:13], s[2:3] offset:24 th:TH_ATOMIC_RETURN scope:SCOPE_SYS
	s_wait_loadcnt 0x0
	global_inv scope:SCOPE_SYS
	s_wait_xcnt 0x0
	v_cmpx_ne_u64_e64 v[0:1], v[12:13]
	s_cbranch_execz .LBB3_345
; %bb.342:
	s_mov_b32 s7, 0
.LBB3_343:                              ; =>This Inner Loop Header: Depth=1
	s_sleep 1
	s_clause 0x1
	global_load_b64 v[6:7], v5, s[2:3] offset:40
	global_load_b64 v[10:11], v5, s[2:3]
	v_mov_b64_e32 v[12:13], v[0:1]
	s_wait_loadcnt 0x1
	s_delay_alu instid0(VALU_DEP_1) | instskip(NEXT) | instid1(VALU_DEP_2)
	v_and_b32_e32 v0, v6, v12
	v_and_b32_e32 v6, v7, v13
	s_wait_loadcnt 0x0
	s_delay_alu instid0(VALU_DEP_2) | instskip(NEXT) | instid1(VALU_DEP_1)
	v_mad_nc_u64_u32 v[0:1], v0, 24, v[10:11]
	v_mad_u32 v1, v6, 24, v1
	global_load_b64 v[10:11], v[0:1], off scope:SCOPE_SYS
	s_wait_xcnt 0x0
	s_wait_loadcnt 0x0
	global_atomic_cmpswap_b64 v[0:1], v5, v[10:13], s[2:3] offset:24 th:TH_ATOMIC_RETURN scope:SCOPE_SYS
	s_wait_loadcnt 0x0
	global_inv scope:SCOPE_SYS
	v_cmp_eq_u64_e32 vcc_lo, v[0:1], v[12:13]
	s_or_b32 s7, vcc_lo, s7
	s_wait_xcnt 0x0
	s_and_not1_b32 exec_lo, exec_lo, s7
	s_cbranch_execnz .LBB3_343
; %bb.344:
	s_or_b32 exec_lo, exec_lo, s7
.LBB3_345:
	s_delay_alu instid0(SALU_CYCLE_1)
	s_or_b32 exec_lo, exec_lo, s6
.LBB3_346:
	s_delay_alu instid0(SALU_CYCLE_1)
	s_or_b32 exec_lo, exec_lo, s1
	v_readfirstlane_b32 s6, v0
	v_mov_b32_e32 v5, 0
	v_readfirstlane_b32 s7, v1
	s_mov_b32 s1, exec_lo
	s_wait_loadcnt 0x0
	s_clause 0x1
	global_load_b64 v[6:7], v5, s[2:3] offset:40
	global_load_b128 v[12:15], v5, s[2:3]
	s_wait_loadcnt 0x1
	v_and_b32_e32 v6, s6, v6
	v_and_b32_e32 v7, s7, v7
	s_delay_alu instid0(VALU_DEP_1) | instskip(SKIP_1) | instid1(VALU_DEP_1)
	v_mul_u64_e32 v[0:1], 24, v[6:7]
	s_wait_loadcnt 0x0
	v_add_nc_u64_e32 v[0:1], v[12:13], v[0:1]
	s_wait_xcnt 0x0
	s_and_saveexec_b32 s8, s0
	s_cbranch_execz .LBB3_348
; %bb.347:
	v_mov_b64_e32 v[18:19], 0x100000002
	v_dual_mov_b32 v16, s1 :: v_dual_mov_b32 v17, v5
	global_store_b128 v[0:1], v[16:19], off offset:8
.LBB3_348:
	s_wait_xcnt 0x0
	s_or_b32 exec_lo, exec_lo, s8
	v_lshlrev_b64_e32 v[6:7], 12, v[6:7]
	s_mov_b32 s8, 0
	v_and_or_b32 v8, 0xffffff1f, v8, 32
	s_mov_b32 s10, s8
	s_mov_b32 s11, s8
	;; [unrolled: 1-line block ×3, first 2 shown]
	v_mov_b64_e32 v[18:19], s[10:11]
	v_add_nc_u64_e32 v[14:15], v[14:15], v[6:7]
	v_mov_b64_e32 v[16:17], s[8:9]
	v_dual_mov_b32 v10, 15 :: v_dual_mov_b32 v11, v5
	s_delay_alu instid0(VALU_DEP_3) | instskip(NEXT) | instid1(VALU_DEP_4)
	v_readfirstlane_b32 s12, v14
	v_readfirstlane_b32 s13, v15
	s_clause 0x3
	global_store_b128 v4, v[8:11], s[12:13]
	global_store_b128 v4, v[16:19], s[12:13] offset:16
	global_store_b128 v4, v[16:19], s[12:13] offset:32
	;; [unrolled: 1-line block ×3, first 2 shown]
	s_wait_xcnt 0x0
	s_and_saveexec_b32 s1, s0
	s_cbranch_execz .LBB3_356
; %bb.349:
	v_dual_mov_b32 v16, 0 :: v_dual_mov_b32 v19, s7
	s_mov_b32 s8, exec_lo
	s_clause 0x1
	global_load_b64 v[20:21], v16, s[2:3] offset:32 scope:SCOPE_SYS
	global_load_b64 v[6:7], v16, s[2:3] offset:40
	s_wait_loadcnt 0x0
	v_dual_mov_b32 v18, s6 :: v_dual_bitop2_b32 v7, s7, v7 bitop3:0x40
	v_and_b32_e32 v6, s6, v6
	s_delay_alu instid0(VALU_DEP_1) | instskip(NEXT) | instid1(VALU_DEP_1)
	v_mul_u64_e32 v[6:7], 24, v[6:7]
	v_add_nc_u64_e32 v[10:11], v[12:13], v[6:7]
	global_store_b64 v[10:11], v[20:21], off
	global_wb scope:SCOPE_SYS
	s_wait_storecnt 0x0
	s_wait_xcnt 0x0
	global_atomic_cmpswap_b64 v[8:9], v16, v[18:21], s[2:3] offset:32 th:TH_ATOMIC_RETURN scope:SCOPE_SYS
	s_wait_loadcnt 0x0
	v_cmpx_ne_u64_e64 v[8:9], v[20:21]
	s_cbranch_execz .LBB3_352
; %bb.350:
	s_mov_b32 s9, 0
.LBB3_351:                              ; =>This Inner Loop Header: Depth=1
	v_dual_mov_b32 v6, s6 :: v_dual_mov_b32 v7, s7
	s_sleep 1
	global_store_b64 v[10:11], v[8:9], off
	global_wb scope:SCOPE_SYS
	s_wait_storecnt 0x0
	s_wait_xcnt 0x0
	global_atomic_cmpswap_b64 v[6:7], v16, v[6:9], s[2:3] offset:32 th:TH_ATOMIC_RETURN scope:SCOPE_SYS
	s_wait_loadcnt 0x0
	v_cmp_eq_u64_e32 vcc_lo, v[6:7], v[8:9]
	v_mov_b64_e32 v[8:9], v[6:7]
	s_or_b32 s9, vcc_lo, s9
	s_delay_alu instid0(SALU_CYCLE_1)
	s_and_not1_b32 exec_lo, exec_lo, s9
	s_cbranch_execnz .LBB3_351
.LBB3_352:
	s_or_b32 exec_lo, exec_lo, s8
	v_mov_b32_e32 v9, 0
	s_mov_b32 s9, exec_lo
	s_mov_b32 s8, exec_lo
	v_mbcnt_lo_u32_b32 v8, s9, 0
	global_load_b64 v[6:7], v9, s[2:3] offset:16
	s_wait_xcnt 0x0
	v_cmpx_eq_u32_e32 0, v8
	s_cbranch_execz .LBB3_354
; %bb.353:
	s_bcnt1_i32_b32 s9, s9
	s_delay_alu instid0(SALU_CYCLE_1)
	v_mov_b32_e32 v8, s9
	global_wb scope:SCOPE_SYS
	s_wait_loadcnt 0x0
	s_wait_storecnt 0x0
	global_atomic_add_u64 v[6:7], v[8:9], off offset:8 scope:SCOPE_SYS
.LBB3_354:
	s_wait_xcnt 0x0
	s_or_b32 exec_lo, exec_lo, s8
	s_wait_loadcnt 0x0
	global_load_b64 v[8:9], v[6:7], off offset:16
	s_wait_loadcnt 0x0
	v_cmp_eq_u64_e32 vcc_lo, 0, v[8:9]
	s_cbranch_vccnz .LBB3_356
; %bb.355:
	global_load_b32 v6, v[6:7], off offset:24
	s_wait_xcnt 0x0
	v_mov_b32_e32 v7, 0
	s_wait_loadcnt 0x0
	v_readfirstlane_b32 s8, v6
	global_wb scope:SCOPE_SYS
	s_wait_storecnt 0x0
	global_store_b64 v[8:9], v[6:7], off scope:SCOPE_SYS
	s_and_b32 m0, s8, 0xffffff
	s_sendmsg sendmsg(MSG_INTERRUPT)
.LBB3_356:
	s_wait_xcnt 0x0
	s_or_b32 exec_lo, exec_lo, s1
	v_add_nc_u64_e32 v[6:7], v[14:15], v[4:5]
	s_branch .LBB3_360
.LBB3_357:                              ;   in Loop: Header=BB3_360 Depth=1
	s_wait_xcnt 0x0
	s_or_b32 exec_lo, exec_lo, s1
	s_delay_alu instid0(VALU_DEP_1)
	v_readfirstlane_b32 s1, v5
	s_cmp_eq_u32 s1, 0
	s_cbranch_scc1 .LBB3_359
; %bb.358:                              ;   in Loop: Header=BB3_360 Depth=1
	s_sleep 1
	s_cbranch_execnz .LBB3_360
	s_branch .LBB3_362
.LBB3_359:
	s_branch .LBB3_362
.LBB3_360:                              ; =>This Inner Loop Header: Depth=1
	v_mov_b32_e32 v5, 1
	s_and_saveexec_b32 s1, s0
	s_cbranch_execz .LBB3_357
; %bb.361:                              ;   in Loop: Header=BB3_360 Depth=1
	global_load_b32 v5, v[0:1], off offset:20 scope:SCOPE_SYS
	s_wait_loadcnt 0x0
	global_inv scope:SCOPE_SYS
	v_and_b32_e32 v5, 1, v5
	s_branch .LBB3_357
.LBB3_362:
	global_load_b64 v[0:1], v[6:7], off
	s_wait_xcnt 0x0
	s_and_saveexec_b32 s8, s0
	s_cbranch_execz .LBB3_366
; %bb.363:
	v_mov_b32_e32 v5, 0
	s_clause 0x2
	global_load_b64 v[6:7], v5, s[2:3] offset:40
	global_load_b64 v[14:15], v5, s[2:3] offset:24 scope:SCOPE_SYS
	global_load_b64 v[8:9], v5, s[2:3]
	s_wait_loadcnt 0x2
	v_readfirstlane_b32 s10, v6
	v_readfirstlane_b32 s11, v7
	s_add_nc_u64 s[0:1], s[10:11], 1
	s_delay_alu instid0(SALU_CYCLE_1) | instskip(NEXT) | instid1(SALU_CYCLE_1)
	s_add_nc_u64 s[6:7], s[0:1], s[6:7]
	s_cmp_eq_u64 s[6:7], 0
	s_cselect_b32 s1, s1, s7
	s_cselect_b32 s0, s0, s6
	v_mov_b32_e32 v13, s1
	s_and_b64 s[6:7], s[0:1], s[10:11]
	v_mov_b32_e32 v12, s0
	s_mul_u64 s[6:7], s[6:7], 24
	s_wait_loadcnt 0x0
	v_add_nc_u64_e32 v[10:11], s[6:7], v[8:9]
	global_store_b64 v[10:11], v[14:15], off
	global_wb scope:SCOPE_SYS
	s_wait_storecnt 0x0
	s_wait_xcnt 0x0
	global_atomic_cmpswap_b64 v[8:9], v5, v[12:15], s[2:3] offset:24 th:TH_ATOMIC_RETURN scope:SCOPE_SYS
	s_wait_loadcnt 0x0
	v_cmp_ne_u64_e32 vcc_lo, v[8:9], v[14:15]
	s_and_b32 exec_lo, exec_lo, vcc_lo
	s_cbranch_execz .LBB3_366
; %bb.364:
	s_mov_b32 s6, 0
.LBB3_365:                              ; =>This Inner Loop Header: Depth=1
	v_dual_mov_b32 v6, s0 :: v_dual_mov_b32 v7, s1
	s_sleep 1
	global_store_b64 v[10:11], v[8:9], off
	global_wb scope:SCOPE_SYS
	s_wait_storecnt 0x0
	s_wait_xcnt 0x0
	global_atomic_cmpswap_b64 v[6:7], v5, v[6:9], s[2:3] offset:24 th:TH_ATOMIC_RETURN scope:SCOPE_SYS
	s_wait_loadcnt 0x0
	v_cmp_eq_u64_e32 vcc_lo, v[6:7], v[8:9]
	v_mov_b64_e32 v[8:9], v[6:7]
	s_or_b32 s6, vcc_lo, s6
	s_delay_alu instid0(SALU_CYCLE_1)
	s_and_not1_b32 exec_lo, exec_lo, s6
	s_cbranch_execnz .LBB3_365
.LBB3_366:
	s_or_b32 exec_lo, exec_lo, s8
	v_readfirstlane_b32 s0, v3
	v_mov_b64_e32 v[10:11], 0
	s_delay_alu instid0(VALU_DEP_2)
	v_cmp_eq_u32_e64 s0, s0, v3
	s_and_saveexec_b32 s1, s0
	s_cbranch_execz .LBB3_372
; %bb.367:
	v_mov_b32_e32 v3, 0
	s_mov_b32 s6, exec_lo
	global_load_b64 v[8:9], v3, s[2:3] offset:24 scope:SCOPE_SYS
	s_wait_loadcnt 0x0
	global_inv scope:SCOPE_SYS
	s_clause 0x1
	global_load_b64 v[6:7], v3, s[2:3] offset:40
	global_load_b64 v[10:11], v3, s[2:3]
	s_wait_loadcnt 0x1
	v_and_b32_e32 v6, v6, v8
	v_and_b32_e32 v7, v7, v9
	s_delay_alu instid0(VALU_DEP_1) | instskip(SKIP_1) | instid1(VALU_DEP_1)
	v_mul_u64_e32 v[6:7], 24, v[6:7]
	s_wait_loadcnt 0x0
	v_add_nc_u64_e32 v[6:7], v[10:11], v[6:7]
	global_load_b64 v[6:7], v[6:7], off scope:SCOPE_SYS
	s_wait_xcnt 0x0
	s_wait_loadcnt 0x0
	global_atomic_cmpswap_b64 v[10:11], v3, v[6:9], s[2:3] offset:24 th:TH_ATOMIC_RETURN scope:SCOPE_SYS
	s_wait_loadcnt 0x0
	global_inv scope:SCOPE_SYS
	s_wait_xcnt 0x0
	v_cmpx_ne_u64_e64 v[10:11], v[8:9]
	s_cbranch_execz .LBB3_371
; %bb.368:
	s_mov_b32 s7, 0
.LBB3_369:                              ; =>This Inner Loop Header: Depth=1
	s_sleep 1
	s_clause 0x1
	global_load_b64 v[6:7], v3, s[2:3] offset:40
	global_load_b64 v[12:13], v3, s[2:3]
	v_mov_b64_e32 v[8:9], v[10:11]
	s_wait_loadcnt 0x1
	s_delay_alu instid0(VALU_DEP_1) | instskip(SKIP_1) | instid1(VALU_DEP_1)
	v_and_b32_e32 v5, v6, v8
	s_wait_loadcnt 0x0
	v_mad_nc_u64_u32 v[10:11], v5, 24, v[12:13]
	s_delay_alu instid0(VALU_DEP_3) | instskip(NEXT) | instid1(VALU_DEP_1)
	v_and_b32_e32 v5, v7, v9
	v_mad_u32 v11, v5, 24, v11
	global_load_b64 v[6:7], v[10:11], off scope:SCOPE_SYS
	s_wait_xcnt 0x0
	s_wait_loadcnt 0x0
	global_atomic_cmpswap_b64 v[10:11], v3, v[6:9], s[2:3] offset:24 th:TH_ATOMIC_RETURN scope:SCOPE_SYS
	s_wait_loadcnt 0x0
	global_inv scope:SCOPE_SYS
	v_cmp_eq_u64_e32 vcc_lo, v[10:11], v[8:9]
	s_or_b32 s7, vcc_lo, s7
	s_wait_xcnt 0x0
	s_and_not1_b32 exec_lo, exec_lo, s7
	s_cbranch_execnz .LBB3_369
; %bb.370:
	s_or_b32 exec_lo, exec_lo, s7
.LBB3_371:
	s_delay_alu instid0(SALU_CYCLE_1)
	s_or_b32 exec_lo, exec_lo, s6
.LBB3_372:
	s_delay_alu instid0(SALU_CYCLE_1)
	s_or_b32 exec_lo, exec_lo, s1
	v_readfirstlane_b32 s6, v10
	v_mov_b32_e32 v3, 0
	v_readfirstlane_b32 s7, v11
	s_mov_b32 s1, exec_lo
	s_clause 0x1
	global_load_b64 v[12:13], v3, s[2:3] offset:40
	global_load_b128 v[6:9], v3, s[2:3]
	s_wait_loadcnt 0x1
	v_and_b32_e32 v12, s6, v12
	v_and_b32_e32 v13, s7, v13
	s_delay_alu instid0(VALU_DEP_1) | instskip(SKIP_1) | instid1(VALU_DEP_1)
	v_mul_u64_e32 v[10:11], 24, v[12:13]
	s_wait_loadcnt 0x0
	v_add_nc_u64_e32 v[10:11], v[6:7], v[10:11]
	s_wait_xcnt 0x0
	s_and_saveexec_b32 s8, s0
	s_cbranch_execz .LBB3_374
; %bb.373:
	v_mov_b64_e32 v[16:17], 0x100000002
	v_dual_mov_b32 v14, s1 :: v_dual_mov_b32 v15, v3
	global_store_b128 v[10:11], v[14:17], off offset:8
.LBB3_374:
	s_wait_xcnt 0x0
	s_or_b32 exec_lo, exec_lo, s8
	v_lshlrev_b64_e32 v[12:13], 12, v[12:13]
	s_mov_b32 s8, 0
	v_and_or_b32 v0, 0xffffff1d, v0, 34
	s_mov_b32 s10, s8
	s_mov_b32 s11, s8
	;; [unrolled: 1-line block ×3, first 2 shown]
	s_delay_alu instid0(VALU_DEP_2) | instskip(SKIP_2) | instid1(VALU_DEP_3)
	v_add_nc_u64_e32 v[8:9], v[8:9], v[12:13]
	v_mov_b64_e32 v[14:15], s[10:11]
	v_mov_b64_e32 v[12:13], s[8:9]
	v_readfirstlane_b32 s12, v8
	s_delay_alu instid0(VALU_DEP_4)
	v_readfirstlane_b32 s13, v9
	s_wait_dscnt 0x0
	s_clause 0x3
	global_store_b128 v4, v[0:3], s[12:13]
	global_store_b128 v4, v[12:15], s[12:13] offset:16
	global_store_b128 v4, v[12:15], s[12:13] offset:32
	global_store_b128 v4, v[12:15], s[12:13] offset:48
	s_wait_xcnt 0x0
	s_and_saveexec_b32 s1, s0
	s_cbranch_execz .LBB3_382
; %bb.375:
	v_mov_b32_e32 v3, 0
	s_mov_b32 s8, exec_lo
	s_clause 0x1
	global_load_b64 v[8:9], v3, s[2:3] offset:32 scope:SCOPE_SYS
	global_load_b64 v[0:1], v3, s[2:3] offset:40
	s_wait_loadcnt 0x0
	v_and_b32_e32 v0, s6, v0
	v_and_b32_e32 v1, s7, v1
	s_delay_alu instid0(VALU_DEP_1) | instskip(NEXT) | instid1(VALU_DEP_1)
	v_mul_u64_e32 v[0:1], 24, v[0:1]
	v_add_nc_u64_e32 v[0:1], v[6:7], v[0:1]
	v_dual_mov_b32 v6, s6 :: v_dual_mov_b32 v7, s7
	global_store_b64 v[0:1], v[8:9], off
	global_wb scope:SCOPE_SYS
	s_wait_storecnt 0x0
	s_wait_xcnt 0x0
	global_atomic_cmpswap_b64 v[6:7], v3, v[6:9], s[2:3] offset:32 th:TH_ATOMIC_RETURN scope:SCOPE_SYS
	s_wait_loadcnt 0x0
	v_cmpx_ne_u64_e64 v[6:7], v[8:9]
	s_cbranch_execz .LBB3_378
; %bb.376:
	s_mov_b32 s9, 0
.LBB3_377:                              ; =>This Inner Loop Header: Depth=1
	v_dual_mov_b32 v4, s6 :: v_dual_mov_b32 v5, s7
	s_sleep 1
	global_store_b64 v[0:1], v[6:7], off
	global_wb scope:SCOPE_SYS
	s_wait_storecnt 0x0
	s_wait_xcnt 0x0
	global_atomic_cmpswap_b64 v[4:5], v3, v[4:7], s[2:3] offset:32 th:TH_ATOMIC_RETURN scope:SCOPE_SYS
	s_wait_loadcnt 0x0
	v_cmp_eq_u64_e32 vcc_lo, v[4:5], v[6:7]
	v_mov_b64_e32 v[6:7], v[4:5]
	s_or_b32 s9, vcc_lo, s9
	s_delay_alu instid0(SALU_CYCLE_1)
	s_and_not1_b32 exec_lo, exec_lo, s9
	s_cbranch_execnz .LBB3_377
.LBB3_378:
	s_or_b32 exec_lo, exec_lo, s8
	v_mov_b32_e32 v5, 0
	s_mov_b32 s9, exec_lo
	s_mov_b32 s8, exec_lo
	v_mbcnt_lo_u32_b32 v3, s9, 0
	global_load_b64 v[0:1], v5, s[2:3] offset:16
	s_wait_xcnt 0x0
	v_cmpx_eq_u32_e32 0, v3
	s_cbranch_execz .LBB3_380
; %bb.379:
	s_bcnt1_i32_b32 s9, s9
	s_delay_alu instid0(SALU_CYCLE_1)
	v_mov_b32_e32 v4, s9
	global_wb scope:SCOPE_SYS
	s_wait_loadcnt 0x0
	s_wait_storecnt 0x0
	global_atomic_add_u64 v[0:1], v[4:5], off offset:8 scope:SCOPE_SYS
.LBB3_380:
	s_wait_xcnt 0x0
	s_or_b32 exec_lo, exec_lo, s8
	s_wait_loadcnt 0x0
	global_load_b64 v[4:5], v[0:1], off offset:16
	s_wait_loadcnt 0x0
	v_cmp_eq_u64_e32 vcc_lo, 0, v[4:5]
	s_cbranch_vccnz .LBB3_382
; %bb.381:
	global_load_b32 v0, v[0:1], off offset:24
	s_wait_xcnt 0x0
	v_mov_b32_e32 v1, 0
	s_wait_loadcnt 0x0
	v_readfirstlane_b32 s8, v0
	global_wb scope:SCOPE_SYS
	s_wait_storecnt 0x0
	global_store_b64 v[4:5], v[0:1], off scope:SCOPE_SYS
	s_and_b32 m0, s8, 0xffffff
	s_sendmsg sendmsg(MSG_INTERRUPT)
.LBB3_382:
	s_wait_xcnt 0x0
	s_or_b32 exec_lo, exec_lo, s1
	s_branch .LBB3_386
.LBB3_383:                              ;   in Loop: Header=BB3_386 Depth=1
	s_wait_xcnt 0x0
	s_or_b32 exec_lo, exec_lo, s1
	s_delay_alu instid0(VALU_DEP_1)
	v_readfirstlane_b32 s1, v0
	s_cmp_eq_u32 s1, 0
	s_cbranch_scc1 .LBB3_385
; %bb.384:                              ;   in Loop: Header=BB3_386 Depth=1
	s_sleep 1
	s_cbranch_execnz .LBB3_386
	s_branch .LBB3_388
.LBB3_385:
	s_branch .LBB3_388
.LBB3_386:                              ; =>This Inner Loop Header: Depth=1
	v_mov_b32_e32 v0, 1
	s_and_saveexec_b32 s1, s0
	s_cbranch_execz .LBB3_383
; %bb.387:                              ;   in Loop: Header=BB3_386 Depth=1
	global_load_b32 v0, v[10:11], off offset:20 scope:SCOPE_SYS
	s_wait_loadcnt 0x0
	global_inv scope:SCOPE_SYS
	v_and_b32_e32 v0, 1, v0
	s_branch .LBB3_383
.LBB3_388:
	s_and_saveexec_b32 s8, s0
	s_cbranch_execz .LBB3_392
; %bb.389:
	v_mov_b32_e32 v3, 0
	s_clause 0x2
	global_load_b64 v[0:1], v3, s[2:3] offset:40
	global_load_b64 v[8:9], v3, s[2:3] offset:24 scope:SCOPE_SYS
	global_load_b64 v[4:5], v3, s[2:3]
	s_wait_loadcnt 0x2
	v_readfirstlane_b32 s10, v0
	v_readfirstlane_b32 s11, v1
	s_add_nc_u64 s[0:1], s[10:11], 1
	s_delay_alu instid0(SALU_CYCLE_1) | instskip(NEXT) | instid1(SALU_CYCLE_1)
	s_add_nc_u64 s[6:7], s[0:1], s[6:7]
	s_cmp_eq_u64 s[6:7], 0
	s_cselect_b32 s1, s1, s7
	s_cselect_b32 s0, s0, s6
	v_mov_b32_e32 v7, s1
	s_and_b64 s[6:7], s[0:1], s[10:11]
	v_mov_b32_e32 v6, s0
	s_mul_u64 s[6:7], s[6:7], 24
	s_wait_loadcnt 0x0
	v_add_nc_u64_e32 v[0:1], s[6:7], v[4:5]
	global_store_b64 v[0:1], v[8:9], off
	global_wb scope:SCOPE_SYS
	s_wait_storecnt 0x0
	s_wait_xcnt 0x0
	global_atomic_cmpswap_b64 v[6:7], v3, v[6:9], s[2:3] offset:24 th:TH_ATOMIC_RETURN scope:SCOPE_SYS
	s_wait_loadcnt 0x0
	v_cmp_ne_u64_e32 vcc_lo, v[6:7], v[8:9]
	s_and_b32 exec_lo, exec_lo, vcc_lo
	s_cbranch_execz .LBB3_392
; %bb.390:
	s_mov_b32 s6, 0
.LBB3_391:                              ; =>This Inner Loop Header: Depth=1
	v_dual_mov_b32 v4, s0 :: v_dual_mov_b32 v5, s1
	s_sleep 1
	global_store_b64 v[0:1], v[6:7], off
	global_wb scope:SCOPE_SYS
	s_wait_storecnt 0x0
	s_wait_xcnt 0x0
	global_atomic_cmpswap_b64 v[4:5], v3, v[4:7], s[2:3] offset:24 th:TH_ATOMIC_RETURN scope:SCOPE_SYS
	s_wait_loadcnt 0x0
	v_cmp_eq_u64_e32 vcc_lo, v[4:5], v[6:7]
	v_mov_b64_e32 v[6:7], v[4:5]
	s_or_b32 s6, vcc_lo, s6
	s_delay_alu instid0(SALU_CYCLE_1)
	s_and_not1_b32 exec_lo, exec_lo, s6
	s_cbranch_execnz .LBB3_391
.LBB3_392:
	s_or_b32 exec_lo, exec_lo, s8
	v_lshrrev_b32_e32 v0, 2, v36
	s_delay_alu instid0(VALU_DEP_1)
	v_and_b32_e32 v0, 0x3ffffffc, v0
	global_store_b32 v0, v2, s[4:5]
.LBB3_393:
	s_endpgm
.LBB3_394:
	s_cbranch_execz .LBB3_200
	s_branch .LBB3_201
	.section	.rodata,"a",@progbits
	.p2align	6, 0x0
	.amdhsa_kernel _ZL32kernel_cg_group_partition_staticILj16EEvPi19TiledGroupShflTests
		.amdhsa_group_segment_fixed_size 0
		.amdhsa_private_segment_fixed_size 12
		.amdhsa_kernarg_size 272
		.amdhsa_user_sgpr_count 2
		.amdhsa_user_sgpr_dispatch_ptr 0
		.amdhsa_user_sgpr_queue_ptr 0
		.amdhsa_user_sgpr_kernarg_segment_ptr 1
		.amdhsa_user_sgpr_dispatch_id 0
		.amdhsa_user_sgpr_kernarg_preload_length 0
		.amdhsa_user_sgpr_kernarg_preload_offset 0
		.amdhsa_user_sgpr_private_segment_size 0
		.amdhsa_wavefront_size32 1
		.amdhsa_uses_dynamic_stack 0
		.amdhsa_enable_private_segment 1
		.amdhsa_system_sgpr_workgroup_id_x 1
		.amdhsa_system_sgpr_workgroup_id_y 0
		.amdhsa_system_sgpr_workgroup_id_z 0
		.amdhsa_system_sgpr_workgroup_info 0
		.amdhsa_system_vgpr_workitem_id 2
		.amdhsa_next_free_vgpr 37
		.amdhsa_next_free_sgpr 26
		.amdhsa_named_barrier_count 0
		.amdhsa_reserve_vcc 1
		.amdhsa_float_round_mode_32 0
		.amdhsa_float_round_mode_16_64 0
		.amdhsa_float_denorm_mode_32 3
		.amdhsa_float_denorm_mode_16_64 3
		.amdhsa_fp16_overflow 0
		.amdhsa_memory_ordered 1
		.amdhsa_forward_progress 1
		.amdhsa_inst_pref_size 139
		.amdhsa_round_robin_scheduling 0
		.amdhsa_exception_fp_ieee_invalid_op 0
		.amdhsa_exception_fp_denorm_src 0
		.amdhsa_exception_fp_ieee_div_zero 0
		.amdhsa_exception_fp_ieee_overflow 0
		.amdhsa_exception_fp_ieee_underflow 0
		.amdhsa_exception_fp_ieee_inexact 0
		.amdhsa_exception_int_div_zero 0
	.end_amdhsa_kernel
	.section	.text._ZL32kernel_cg_group_partition_staticILj16EEvPi19TiledGroupShflTests,"axG",@progbits,_ZL32kernel_cg_group_partition_staticILj16EEvPi19TiledGroupShflTests,comdat
.Lfunc_end3:
	.size	_ZL32kernel_cg_group_partition_staticILj16EEvPi19TiledGroupShflTests, .Lfunc_end3-_ZL32kernel_cg_group_partition_staticILj16EEvPi19TiledGroupShflTests
                                        ; -- End function
	.set _ZL32kernel_cg_group_partition_staticILj16EEvPi19TiledGroupShflTests.num_vgpr, 37
	.set _ZL32kernel_cg_group_partition_staticILj16EEvPi19TiledGroupShflTests.num_agpr, 0
	.set _ZL32kernel_cg_group_partition_staticILj16EEvPi19TiledGroupShflTests.numbered_sgpr, 26
	.set _ZL32kernel_cg_group_partition_staticILj16EEvPi19TiledGroupShflTests.num_named_barrier, 0
	.set _ZL32kernel_cg_group_partition_staticILj16EEvPi19TiledGroupShflTests.private_seg_size, 12
	.set _ZL32kernel_cg_group_partition_staticILj16EEvPi19TiledGroupShflTests.uses_vcc, 1
	.set _ZL32kernel_cg_group_partition_staticILj16EEvPi19TiledGroupShflTests.uses_flat_scratch, 0
	.set _ZL32kernel_cg_group_partition_staticILj16EEvPi19TiledGroupShflTests.has_dyn_sized_stack, 0
	.set _ZL32kernel_cg_group_partition_staticILj16EEvPi19TiledGroupShflTests.has_recursion, 0
	.set _ZL32kernel_cg_group_partition_staticILj16EEvPi19TiledGroupShflTests.has_indirect_call, 0
	.section	.AMDGPU.csdata,"",@progbits
; Kernel info:
; codeLenInByte = 17756
; TotalNumSgprs: 28
; NumVgprs: 37
; ScratchSize: 12
; MemoryBound: 0
; FloatMode: 240
; IeeeMode: 1
; LDSByteSize: 0 bytes/workgroup (compile time only)
; SGPRBlocks: 0
; VGPRBlocks: 2
; NumSGPRsForWavesPerEU: 28
; NumVGPRsForWavesPerEU: 37
; NamedBarCnt: 0
; Occupancy: 16
; WaveLimiterHint : 1
; COMPUTE_PGM_RSRC2:SCRATCH_EN: 1
; COMPUTE_PGM_RSRC2:USER_SGPR: 2
; COMPUTE_PGM_RSRC2:TRAP_HANDLER: 0
; COMPUTE_PGM_RSRC2:TGID_X_EN: 1
; COMPUTE_PGM_RSRC2:TGID_Y_EN: 0
; COMPUTE_PGM_RSRC2:TGID_Z_EN: 0
; COMPUTE_PGM_RSRC2:TIDIG_COMP_CNT: 2
	.section	.text._ZL32kernel_cg_group_partition_staticILj32EEvPi19TiledGroupShflTests,"axG",@progbits,_ZL32kernel_cg_group_partition_staticILj32EEvPi19TiledGroupShflTests,comdat
	.globl	_ZL32kernel_cg_group_partition_staticILj32EEvPi19TiledGroupShflTests ; -- Begin function _ZL32kernel_cg_group_partition_staticILj32EEvPi19TiledGroupShflTests
	.p2align	8
	.type	_ZL32kernel_cg_group_partition_staticILj32EEvPi19TiledGroupShflTests,@function
_ZL32kernel_cg_group_partition_staticILj32EEvPi19TiledGroupShflTests: ; @_ZL32kernel_cg_group_partition_staticILj32EEvPi19TiledGroupShflTests
; %bb.0:
	s_load_b32 s2, s[0:1], 0x1c
	v_bfe_u32 v1, v0, 10, 10
	v_bfe_u32 v2, v0, 20, 10
	v_and_b32_e32 v0, 0x3ff, v0
	s_add_nc_u64 s[8:9], s[0:1], 16
	s_mov_b32 s18, exec_lo
	s_wait_kmcnt 0x0
	s_lshr_b32 s19, s2, 16
	s_and_b32 s20, s2, 0xffff
	v_mad_u32_u24 v1, v2, s19, v1
	s_delay_alu instid0(VALU_DEP_1) | instskip(NEXT) | instid1(VALU_DEP_1)
	v_mad_u32 v36, v1, s20, v0
	v_cmpx_eq_u32_e32 0, v36
	s_cbranch_execz .LBB4_186
; %bb.1:
	s_clause 0x1
	s_load_b32 s21, s[8:9], 0x10
	s_load_b64 s[4:5], s[8:9], 0x50
	v_mbcnt_lo_u32_b32 v29, -1, 0
	v_mov_b64_e32 v[2:3], 0
	s_delay_alu instid0(VALU_DEP_2) | instskip(NEXT) | instid1(VALU_DEP_1)
	v_readfirstlane_b32 s2, v29
	v_cmp_eq_u32_e64 s2, s2, v29
	s_and_saveexec_b32 s3, s2
	s_cbranch_execz .LBB4_7
; %bb.2:
	v_mov_b32_e32 v0, 0
	s_mov_b32 s6, exec_lo
	s_wait_kmcnt 0x0
	global_load_b64 v[4:5], v0, s[4:5] offset:24 scope:SCOPE_SYS
	s_wait_loadcnt 0x0
	global_inv scope:SCOPE_SYS
	s_clause 0x1
	global_load_b64 v[2:3], v0, s[4:5] offset:40
	global_load_b64 v[6:7], v0, s[4:5]
	s_wait_loadcnt 0x1
	v_and_b32_e32 v2, v2, v4
	v_and_b32_e32 v3, v3, v5
	s_delay_alu instid0(VALU_DEP_1) | instskip(SKIP_1) | instid1(VALU_DEP_1)
	v_mul_u64_e32 v[2:3], 24, v[2:3]
	s_wait_loadcnt 0x0
	v_add_nc_u64_e32 v[2:3], v[6:7], v[2:3]
	global_load_b64 v[2:3], v[2:3], off scope:SCOPE_SYS
	s_wait_xcnt 0x0
	s_wait_loadcnt 0x0
	global_atomic_cmpswap_b64 v[2:3], v0, v[2:5], s[4:5] offset:24 th:TH_ATOMIC_RETURN scope:SCOPE_SYS
	s_wait_loadcnt 0x0
	global_inv scope:SCOPE_SYS
	s_wait_xcnt 0x0
	v_cmpx_ne_u64_e64 v[2:3], v[4:5]
	s_cbranch_execz .LBB4_6
; %bb.3:
	s_mov_b32 s7, 0
.LBB4_4:                                ; =>This Inner Loop Header: Depth=1
	s_sleep 1
	s_clause 0x1
	global_load_b64 v[6:7], v0, s[4:5] offset:40
	global_load_b64 v[8:9], v0, s[4:5]
	v_mov_b64_e32 v[4:5], v[2:3]
	s_wait_loadcnt 0x1
	s_delay_alu instid0(VALU_DEP_1) | instskip(SKIP_1) | instid1(VALU_DEP_1)
	v_and_b32_e32 v1, v6, v4
	s_wait_loadcnt 0x0
	v_mad_nc_u64_u32 v[2:3], v1, 24, v[8:9]
	s_delay_alu instid0(VALU_DEP_3) | instskip(NEXT) | instid1(VALU_DEP_1)
	v_and_b32_e32 v1, v7, v5
	v_mad_u32 v3, v1, 24, v3
	global_load_b64 v[2:3], v[2:3], off scope:SCOPE_SYS
	s_wait_xcnt 0x0
	s_wait_loadcnt 0x0
	global_atomic_cmpswap_b64 v[2:3], v0, v[2:5], s[4:5] offset:24 th:TH_ATOMIC_RETURN scope:SCOPE_SYS
	s_wait_loadcnt 0x0
	global_inv scope:SCOPE_SYS
	v_cmp_eq_u64_e32 vcc_lo, v[2:3], v[4:5]
	s_or_b32 s7, vcc_lo, s7
	s_wait_xcnt 0x0
	s_and_not1_b32 exec_lo, exec_lo, s7
	s_cbranch_execnz .LBB4_4
; %bb.5:
	s_or_b32 exec_lo, exec_lo, s7
.LBB4_6:
	s_delay_alu instid0(SALU_CYCLE_1)
	s_or_b32 exec_lo, exec_lo, s6
.LBB4_7:
	s_delay_alu instid0(SALU_CYCLE_1)
	s_or_b32 exec_lo, exec_lo, s3
	v_readfirstlane_b32 s6, v2
	v_mov_b32_e32 v1, 0
	v_readfirstlane_b32 s7, v3
	s_mov_b32 s3, exec_lo
	s_wait_kmcnt 0x0
	s_clause 0x1
	global_load_b64 v[8:9], v1, s[4:5] offset:40
	global_load_b128 v[4:7], v1, s[4:5]
	s_wait_loadcnt 0x1
	v_and_b32_e32 v10, s6, v8
	v_and_b32_e32 v11, s7, v9
	s_delay_alu instid0(VALU_DEP_1) | instskip(SKIP_1) | instid1(VALU_DEP_1)
	v_mul_u64_e32 v[2:3], 24, v[10:11]
	s_wait_loadcnt 0x0
	v_add_nc_u64_e32 v[8:9], v[4:5], v[2:3]
	s_and_saveexec_b32 s10, s2
	s_cbranch_execz .LBB4_9
; %bb.8:
	v_mov_b64_e32 v[2:3], 0x100000002
	v_mov_b32_e32 v0, s3
	global_store_b128 v[8:9], v[0:3], off offset:8
.LBB4_9:
	s_wait_xcnt 0x0
	s_or_b32 exec_lo, exec_lo, s10
	v_lshlrev_b64_e32 v[2:3], 12, v[10:11]
	s_mov_b32 s12, 0
	v_dual_lshlrev_b32 v0, 6, v29 :: v_dual_mov_b32 v10, 33
	s_mov_b32 s14, s12
	s_mov_b32 s15, s12
	;; [unrolled: 1-line block ×3, first 2 shown]
	s_delay_alu instid0(VALU_DEP_2)
	v_add_nc_u64_e32 v[6:7], v[6:7], v[2:3]
	v_mov_b64_e32 v[16:17], s[14:15]
	v_mov_b64_e32 v[14:15], s[12:13]
	v_dual_mov_b32 v11, v1 :: v_dual_mov_b32 v12, v1
	v_mov_b32_e32 v13, v1
	v_readfirstlane_b32 s10, v6
	v_readfirstlane_b32 s11, v7
	s_clause 0x3
	global_store_b128 v0, v[10:13], s[10:11]
	global_store_b128 v0, v[14:17], s[10:11] offset:16
	global_store_b128 v0, v[14:17], s[10:11] offset:32
	global_store_b128 v0, v[14:17], s[10:11] offset:48
	s_wait_xcnt 0x0
	s_and_saveexec_b32 s3, s2
	s_cbranch_execz .LBB4_17
; %bb.10:
	v_dual_mov_b32 v12, 0 :: v_dual_mov_b32 v15, s7
	s_mov_b32 s10, exec_lo
	s_clause 0x1
	global_load_b64 v[16:17], v12, s[4:5] offset:32 scope:SCOPE_SYS
	global_load_b64 v[2:3], v12, s[4:5] offset:40
	s_wait_loadcnt 0x0
	v_dual_mov_b32 v14, s6 :: v_dual_bitop2_b32 v3, s7, v3 bitop3:0x40
	v_and_b32_e32 v2, s6, v2
	s_delay_alu instid0(VALU_DEP_1) | instskip(NEXT) | instid1(VALU_DEP_1)
	v_mul_u64_e32 v[2:3], 24, v[2:3]
	v_add_nc_u64_e32 v[10:11], v[4:5], v[2:3]
	global_store_b64 v[10:11], v[16:17], off
	global_wb scope:SCOPE_SYS
	s_wait_storecnt 0x0
	s_wait_xcnt 0x0
	global_atomic_cmpswap_b64 v[4:5], v12, v[14:17], s[4:5] offset:32 th:TH_ATOMIC_RETURN scope:SCOPE_SYS
	s_wait_loadcnt 0x0
	v_cmpx_ne_u64_e64 v[4:5], v[16:17]
	s_cbranch_execz .LBB4_13
; %bb.11:
	s_mov_b32 s11, 0
.LBB4_12:                               ; =>This Inner Loop Header: Depth=1
	v_dual_mov_b32 v2, s6 :: v_dual_mov_b32 v3, s7
	s_sleep 1
	global_store_b64 v[10:11], v[4:5], off
	global_wb scope:SCOPE_SYS
	s_wait_storecnt 0x0
	s_wait_xcnt 0x0
	global_atomic_cmpswap_b64 v[2:3], v12, v[2:5], s[4:5] offset:32 th:TH_ATOMIC_RETURN scope:SCOPE_SYS
	s_wait_loadcnt 0x0
	v_cmp_eq_u64_e32 vcc_lo, v[2:3], v[4:5]
	v_mov_b64_e32 v[4:5], v[2:3]
	s_or_b32 s11, vcc_lo, s11
	s_delay_alu instid0(SALU_CYCLE_1)
	s_and_not1_b32 exec_lo, exec_lo, s11
	s_cbranch_execnz .LBB4_12
.LBB4_13:
	s_or_b32 exec_lo, exec_lo, s10
	v_mov_b32_e32 v5, 0
	s_mov_b32 s11, exec_lo
	s_mov_b32 s10, exec_lo
	v_mbcnt_lo_u32_b32 v4, s11, 0
	global_load_b64 v[2:3], v5, s[4:5] offset:16
	s_wait_xcnt 0x0
	v_cmpx_eq_u32_e32 0, v4
	s_cbranch_execz .LBB4_15
; %bb.14:
	s_bcnt1_i32_b32 s11, s11
	s_delay_alu instid0(SALU_CYCLE_1)
	v_mov_b32_e32 v4, s11
	global_wb scope:SCOPE_SYS
	s_wait_loadcnt 0x0
	s_wait_storecnt 0x0
	global_atomic_add_u64 v[2:3], v[4:5], off offset:8 scope:SCOPE_SYS
.LBB4_15:
	s_wait_xcnt 0x0
	s_or_b32 exec_lo, exec_lo, s10
	s_wait_loadcnt 0x0
	global_load_b64 v[4:5], v[2:3], off offset:16
	s_wait_loadcnt 0x0
	v_cmp_eq_u64_e32 vcc_lo, 0, v[4:5]
	s_cbranch_vccnz .LBB4_17
; %bb.16:
	global_load_b32 v2, v[2:3], off offset:24
	s_wait_xcnt 0x0
	v_mov_b32_e32 v3, 0
	s_wait_loadcnt 0x0
	v_readfirstlane_b32 s10, v2
	global_wb scope:SCOPE_SYS
	s_wait_storecnt 0x0
	global_store_b64 v[4:5], v[2:3], off scope:SCOPE_SYS
	s_and_b32 m0, s10, 0xffffff
	s_sendmsg sendmsg(MSG_INTERRUPT)
.LBB4_17:
	s_wait_xcnt 0x0
	s_or_b32 exec_lo, exec_lo, s3
	v_add_nc_u64_e32 v[2:3], v[6:7], v[0:1]
	s_branch .LBB4_21
.LBB4_18:                               ;   in Loop: Header=BB4_21 Depth=1
	s_wait_xcnt 0x0
	s_or_b32 exec_lo, exec_lo, s3
	s_delay_alu instid0(VALU_DEP_1)
	v_readfirstlane_b32 s3, v1
	s_cmp_eq_u32 s3, 0
	s_cbranch_scc1 .LBB4_20
; %bb.19:                               ;   in Loop: Header=BB4_21 Depth=1
	s_sleep 1
	s_cbranch_execnz .LBB4_21
	s_branch .LBB4_23
.LBB4_20:
	s_branch .LBB4_23
.LBB4_21:                               ; =>This Inner Loop Header: Depth=1
	v_mov_b32_e32 v1, 1
	s_and_saveexec_b32 s3, s2
	s_cbranch_execz .LBB4_18
; %bb.22:                               ;   in Loop: Header=BB4_21 Depth=1
	global_load_b32 v1, v[8:9], off offset:20 scope:SCOPE_SYS
	s_wait_loadcnt 0x0
	global_inv scope:SCOPE_SYS
	v_and_b32_e32 v1, 1, v1
	s_branch .LBB4_18
.LBB4_23:
	global_load_b64 v[2:3], v[2:3], off
	s_wait_xcnt 0x0
	s_and_saveexec_b32 s10, s2
	s_cbranch_execz .LBB4_27
; %bb.24:
	v_mov_b32_e32 v1, 0
	s_clause 0x2
	global_load_b64 v[4:5], v1, s[4:5] offset:40
	global_load_b64 v[12:13], v1, s[4:5] offset:24 scope:SCOPE_SYS
	global_load_b64 v[6:7], v1, s[4:5]
	s_wait_loadcnt 0x2
	v_readfirstlane_b32 s12, v4
	v_readfirstlane_b32 s13, v5
	s_add_nc_u64 s[2:3], s[12:13], 1
	s_delay_alu instid0(SALU_CYCLE_1) | instskip(NEXT) | instid1(SALU_CYCLE_1)
	s_add_nc_u64 s[6:7], s[2:3], s[6:7]
	s_cmp_eq_u64 s[6:7], 0
	s_cselect_b32 s3, s3, s7
	s_cselect_b32 s2, s2, s6
	v_mov_b32_e32 v11, s3
	s_and_b64 s[6:7], s[2:3], s[12:13]
	v_mov_b32_e32 v10, s2
	s_mul_u64 s[6:7], s[6:7], 24
	s_wait_loadcnt 0x0
	v_add_nc_u64_e32 v[8:9], s[6:7], v[6:7]
	global_store_b64 v[8:9], v[12:13], off
	global_wb scope:SCOPE_SYS
	s_wait_storecnt 0x0
	s_wait_xcnt 0x0
	global_atomic_cmpswap_b64 v[6:7], v1, v[10:13], s[4:5] offset:24 th:TH_ATOMIC_RETURN scope:SCOPE_SYS
	s_wait_loadcnt 0x0
	v_cmp_ne_u64_e32 vcc_lo, v[6:7], v[12:13]
	s_and_b32 exec_lo, exec_lo, vcc_lo
	s_cbranch_execz .LBB4_27
; %bb.25:
	s_mov_b32 s6, 0
.LBB4_26:                               ; =>This Inner Loop Header: Depth=1
	v_dual_mov_b32 v4, s2 :: v_dual_mov_b32 v5, s3
	s_sleep 1
	global_store_b64 v[8:9], v[6:7], off
	global_wb scope:SCOPE_SYS
	s_wait_storecnt 0x0
	s_wait_xcnt 0x0
	global_atomic_cmpswap_b64 v[4:5], v1, v[4:7], s[4:5] offset:24 th:TH_ATOMIC_RETURN scope:SCOPE_SYS
	s_wait_loadcnt 0x0
	v_cmp_eq_u64_e32 vcc_lo, v[4:5], v[6:7]
	v_mov_b64_e32 v[6:7], v[4:5]
	s_or_b32 s6, vcc_lo, s6
	s_delay_alu instid0(SALU_CYCLE_1)
	s_and_not1_b32 exec_lo, exec_lo, s6
	s_cbranch_execnz .LBB4_26
.LBB4_27:
	s_or_b32 exec_lo, exec_lo, s10
	s_get_pc_i64 s[6:7]
	s_add_nc_u64 s[6:7], s[6:7], .str@rel64+4
	s_delay_alu instid0(SALU_CYCLE_1)
	s_cmp_lg_u64 s[6:7], 0
	s_cbranch_scc0 .LBB4_106
; %bb.28:
	v_mov_b64_e32 v[10:11], 0x100000002
	s_wait_loadcnt 0x0
	v_dual_mov_b32 v9, 0 :: v_dual_bitop2_b32 v28, 2, v2 bitop3:0x40
	v_dual_mov_b32 v5, v3 :: v_dual_bitop2_b32 v4, -3, v2 bitop3:0x40
	s_mov_b64 s[10:11], 48
	s_branch .LBB4_30
.LBB4_29:                               ;   in Loop: Header=BB4_30 Depth=1
	s_or_b32 exec_lo, exec_lo, s16
	s_sub_nc_u64 s[10:11], s[10:11], s[12:13]
	s_add_nc_u64 s[6:7], s[6:7], s[12:13]
	s_cmp_lg_u64 s[10:11], 0
	s_cbranch_scc0 .LBB4_105
.LBB4_30:                               ; =>This Loop Header: Depth=1
                                        ;     Child Loop BB4_33 Depth 2
                                        ;     Child Loop BB4_40 Depth 2
	;; [unrolled: 1-line block ×11, first 2 shown]
	v_min_u64 v[6:7], s[10:11], 56
	v_cmp_gt_u64_e64 s2, s[10:11], 7
	s_and_b32 vcc_lo, exec_lo, s2
	v_readfirstlane_b32 s12, v6
	v_readfirstlane_b32 s13, v7
	s_cbranch_vccnz .LBB4_35
; %bb.31:                               ;   in Loop: Header=BB4_30 Depth=1
	v_mov_b64_e32 v[6:7], 0
	s_cmp_eq_u64 s[10:11], 0
	s_cbranch_scc1 .LBB4_34
; %bb.32:                               ;   in Loop: Header=BB4_30 Depth=1
	s_mov_b64 s[2:3], 0
	s_mov_b64 s[14:15], 0
.LBB4_33:                               ;   Parent Loop BB4_30 Depth=1
                                        ; =>  This Inner Loop Header: Depth=2
	s_wait_xcnt 0x0
	s_add_nc_u64 s[16:17], s[6:7], s[14:15]
	s_add_nc_u64 s[14:15], s[14:15], 1
	global_load_u8 v1, v9, s[16:17]
	s_cmp_lg_u32 s12, s14
	s_wait_loadcnt 0x0
	v_and_b32_e32 v8, 0xffff, v1
	s_delay_alu instid0(VALU_DEP_1) | instskip(SKIP_1) | instid1(VALU_DEP_1)
	v_lshlrev_b64_e32 v[12:13], s2, v[8:9]
	s_add_nc_u64 s[2:3], s[2:3], 8
	v_or_b32_e32 v6, v12, v6
	s_delay_alu instid0(VALU_DEP_2)
	v_or_b32_e32 v7, v13, v7
	s_cbranch_scc1 .LBB4_33
.LBB4_34:                               ;   in Loop: Header=BB4_30 Depth=1
	s_mov_b64 s[14:15], s[6:7]
	s_mov_b32 s22, 0
	s_cbranch_execz .LBB4_36
	s_branch .LBB4_37
.LBB4_35:                               ;   in Loop: Header=BB4_30 Depth=1
	s_add_nc_u64 s[14:15], s[6:7], 8
	s_mov_b32 s22, 0
.LBB4_36:                               ;   in Loop: Header=BB4_30 Depth=1
	global_load_b64 v[6:7], v9, s[6:7]
	s_add_co_i32 s22, s12, -8
.LBB4_37:                               ;   in Loop: Header=BB4_30 Depth=1
	s_delay_alu instid0(SALU_CYCLE_1)
	s_cmp_gt_u32 s22, 7
	s_cbranch_scc1 .LBB4_42
; %bb.38:                               ;   in Loop: Header=BB4_30 Depth=1
	v_mov_b64_e32 v[12:13], 0
	s_cmp_eq_u32 s22, 0
	s_cbranch_scc1 .LBB4_41
; %bb.39:                               ;   in Loop: Header=BB4_30 Depth=1
	s_mov_b64 s[2:3], 0
	s_wait_xcnt 0x0
	s_mov_b64 s[16:17], 0
.LBB4_40:                               ;   Parent Loop BB4_30 Depth=1
                                        ; =>  This Inner Loop Header: Depth=2
	s_wait_xcnt 0x0
	s_add_nc_u64 s[24:25], s[14:15], s[16:17]
	s_add_nc_u64 s[16:17], s[16:17], 1
	global_load_u8 v1, v9, s[24:25]
	s_cmp_lg_u32 s22, s16
	s_wait_loadcnt 0x0
	v_and_b32_e32 v8, 0xffff, v1
	s_delay_alu instid0(VALU_DEP_1) | instskip(SKIP_1) | instid1(VALU_DEP_1)
	v_lshlrev_b64_e32 v[14:15], s2, v[8:9]
	s_add_nc_u64 s[2:3], s[2:3], 8
	v_or_b32_e32 v12, v14, v12
	s_delay_alu instid0(VALU_DEP_2)
	v_or_b32_e32 v13, v15, v13
	s_cbranch_scc1 .LBB4_40
.LBB4_41:                               ;   in Loop: Header=BB4_30 Depth=1
	s_wait_xcnt 0x0
	s_mov_b64 s[2:3], s[14:15]
	s_mov_b32 s23, 0
	s_cbranch_execz .LBB4_43
	s_branch .LBB4_44
.LBB4_42:                               ;   in Loop: Header=BB4_30 Depth=1
	s_add_nc_u64 s[2:3], s[14:15], 8
	s_wait_xcnt 0x0
                                        ; implicit-def: $vgpr12_vgpr13
	s_mov_b32 s23, 0
.LBB4_43:                               ;   in Loop: Header=BB4_30 Depth=1
	global_load_b64 v[12:13], v9, s[14:15]
	s_add_co_i32 s23, s22, -8
.LBB4_44:                               ;   in Loop: Header=BB4_30 Depth=1
	s_delay_alu instid0(SALU_CYCLE_1)
	s_cmp_gt_u32 s23, 7
	s_cbranch_scc1 .LBB4_49
; %bb.45:                               ;   in Loop: Header=BB4_30 Depth=1
	v_mov_b64_e32 v[14:15], 0
	s_cmp_eq_u32 s23, 0
	s_cbranch_scc1 .LBB4_48
; %bb.46:                               ;   in Loop: Header=BB4_30 Depth=1
	s_wait_xcnt 0x0
	s_mov_b64 s[14:15], 0
	s_mov_b64 s[16:17], 0
.LBB4_47:                               ;   Parent Loop BB4_30 Depth=1
                                        ; =>  This Inner Loop Header: Depth=2
	s_wait_xcnt 0x0
	s_add_nc_u64 s[24:25], s[2:3], s[16:17]
	s_add_nc_u64 s[16:17], s[16:17], 1
	global_load_u8 v1, v9, s[24:25]
	s_cmp_lg_u32 s23, s16
	s_wait_loadcnt 0x0
	v_and_b32_e32 v8, 0xffff, v1
	s_delay_alu instid0(VALU_DEP_1) | instskip(SKIP_1) | instid1(VALU_DEP_1)
	v_lshlrev_b64_e32 v[16:17], s14, v[8:9]
	s_add_nc_u64 s[14:15], s[14:15], 8
	v_or_b32_e32 v14, v16, v14
	s_delay_alu instid0(VALU_DEP_2)
	v_or_b32_e32 v15, v17, v15
	s_cbranch_scc1 .LBB4_47
.LBB4_48:                               ;   in Loop: Header=BB4_30 Depth=1
	s_wait_xcnt 0x0
	s_mov_b64 s[14:15], s[2:3]
	s_mov_b32 s22, 0
	s_cbranch_execz .LBB4_50
	s_branch .LBB4_51
.LBB4_49:                               ;   in Loop: Header=BB4_30 Depth=1
	s_wait_xcnt 0x0
	s_add_nc_u64 s[14:15], s[2:3], 8
	s_mov_b32 s22, 0
.LBB4_50:                               ;   in Loop: Header=BB4_30 Depth=1
	global_load_b64 v[14:15], v9, s[2:3]
	s_add_co_i32 s22, s23, -8
.LBB4_51:                               ;   in Loop: Header=BB4_30 Depth=1
	s_delay_alu instid0(SALU_CYCLE_1)
	s_cmp_gt_u32 s22, 7
	s_cbranch_scc1 .LBB4_56
; %bb.52:                               ;   in Loop: Header=BB4_30 Depth=1
	v_mov_b64_e32 v[16:17], 0
	s_cmp_eq_u32 s22, 0
	s_cbranch_scc1 .LBB4_55
; %bb.53:                               ;   in Loop: Header=BB4_30 Depth=1
	s_wait_xcnt 0x0
	s_mov_b64 s[2:3], 0
	s_mov_b64 s[16:17], 0
.LBB4_54:                               ;   Parent Loop BB4_30 Depth=1
                                        ; =>  This Inner Loop Header: Depth=2
	s_wait_xcnt 0x0
	s_add_nc_u64 s[24:25], s[14:15], s[16:17]
	s_add_nc_u64 s[16:17], s[16:17], 1
	global_load_u8 v1, v9, s[24:25]
	s_cmp_lg_u32 s22, s16
	s_wait_loadcnt 0x0
	v_and_b32_e32 v8, 0xffff, v1
	s_delay_alu instid0(VALU_DEP_1) | instskip(SKIP_1) | instid1(VALU_DEP_1)
	v_lshlrev_b64_e32 v[18:19], s2, v[8:9]
	s_add_nc_u64 s[2:3], s[2:3], 8
	v_or_b32_e32 v16, v18, v16
	s_delay_alu instid0(VALU_DEP_2)
	v_or_b32_e32 v17, v19, v17
	s_cbranch_scc1 .LBB4_54
.LBB4_55:                               ;   in Loop: Header=BB4_30 Depth=1
	s_wait_xcnt 0x0
	s_mov_b64 s[2:3], s[14:15]
	s_mov_b32 s23, 0
	s_cbranch_execz .LBB4_57
	s_branch .LBB4_58
.LBB4_56:                               ;   in Loop: Header=BB4_30 Depth=1
	s_wait_xcnt 0x0
	s_add_nc_u64 s[2:3], s[14:15], 8
                                        ; implicit-def: $vgpr16_vgpr17
	s_mov_b32 s23, 0
.LBB4_57:                               ;   in Loop: Header=BB4_30 Depth=1
	global_load_b64 v[16:17], v9, s[14:15]
	s_add_co_i32 s23, s22, -8
.LBB4_58:                               ;   in Loop: Header=BB4_30 Depth=1
	s_delay_alu instid0(SALU_CYCLE_1)
	s_cmp_gt_u32 s23, 7
	s_cbranch_scc1 .LBB4_63
; %bb.59:                               ;   in Loop: Header=BB4_30 Depth=1
	v_mov_b64_e32 v[18:19], 0
	s_cmp_eq_u32 s23, 0
	s_cbranch_scc1 .LBB4_62
; %bb.60:                               ;   in Loop: Header=BB4_30 Depth=1
	s_wait_xcnt 0x0
	s_mov_b64 s[14:15], 0
	s_mov_b64 s[16:17], 0
.LBB4_61:                               ;   Parent Loop BB4_30 Depth=1
                                        ; =>  This Inner Loop Header: Depth=2
	s_wait_xcnt 0x0
	s_add_nc_u64 s[24:25], s[2:3], s[16:17]
	s_add_nc_u64 s[16:17], s[16:17], 1
	global_load_u8 v1, v9, s[24:25]
	s_cmp_lg_u32 s23, s16
	s_wait_loadcnt 0x0
	v_and_b32_e32 v8, 0xffff, v1
	s_delay_alu instid0(VALU_DEP_1) | instskip(SKIP_1) | instid1(VALU_DEP_1)
	v_lshlrev_b64_e32 v[20:21], s14, v[8:9]
	s_add_nc_u64 s[14:15], s[14:15], 8
	v_or_b32_e32 v18, v20, v18
	s_delay_alu instid0(VALU_DEP_2)
	v_or_b32_e32 v19, v21, v19
	s_cbranch_scc1 .LBB4_61
.LBB4_62:                               ;   in Loop: Header=BB4_30 Depth=1
	s_wait_xcnt 0x0
	s_mov_b64 s[14:15], s[2:3]
	s_mov_b32 s22, 0
	s_cbranch_execz .LBB4_64
	s_branch .LBB4_65
.LBB4_63:                               ;   in Loop: Header=BB4_30 Depth=1
	s_wait_xcnt 0x0
	s_add_nc_u64 s[14:15], s[2:3], 8
	s_mov_b32 s22, 0
.LBB4_64:                               ;   in Loop: Header=BB4_30 Depth=1
	global_load_b64 v[18:19], v9, s[2:3]
	s_add_co_i32 s22, s23, -8
.LBB4_65:                               ;   in Loop: Header=BB4_30 Depth=1
	s_delay_alu instid0(SALU_CYCLE_1)
	s_cmp_gt_u32 s22, 7
	s_cbranch_scc1 .LBB4_70
; %bb.66:                               ;   in Loop: Header=BB4_30 Depth=1
	v_mov_b64_e32 v[20:21], 0
	s_cmp_eq_u32 s22, 0
	s_cbranch_scc1 .LBB4_69
; %bb.67:                               ;   in Loop: Header=BB4_30 Depth=1
	s_wait_xcnt 0x0
	s_mov_b64 s[2:3], 0
	s_mov_b64 s[16:17], 0
.LBB4_68:                               ;   Parent Loop BB4_30 Depth=1
                                        ; =>  This Inner Loop Header: Depth=2
	s_wait_xcnt 0x0
	s_add_nc_u64 s[24:25], s[14:15], s[16:17]
	s_add_nc_u64 s[16:17], s[16:17], 1
	global_load_u8 v1, v9, s[24:25]
	s_cmp_lg_u32 s22, s16
	s_wait_loadcnt 0x0
	v_and_b32_e32 v8, 0xffff, v1
	s_delay_alu instid0(VALU_DEP_1) | instskip(SKIP_1) | instid1(VALU_DEP_1)
	v_lshlrev_b64_e32 v[22:23], s2, v[8:9]
	s_add_nc_u64 s[2:3], s[2:3], 8
	v_or_b32_e32 v20, v22, v20
	s_delay_alu instid0(VALU_DEP_2)
	v_or_b32_e32 v21, v23, v21
	s_cbranch_scc1 .LBB4_68
.LBB4_69:                               ;   in Loop: Header=BB4_30 Depth=1
	s_wait_xcnt 0x0
	s_mov_b64 s[2:3], s[14:15]
	s_mov_b32 s23, 0
	s_cbranch_execz .LBB4_71
	s_branch .LBB4_72
.LBB4_70:                               ;   in Loop: Header=BB4_30 Depth=1
	s_wait_xcnt 0x0
	s_add_nc_u64 s[2:3], s[14:15], 8
                                        ; implicit-def: $vgpr20_vgpr21
	s_mov_b32 s23, 0
.LBB4_71:                               ;   in Loop: Header=BB4_30 Depth=1
	global_load_b64 v[20:21], v9, s[14:15]
	s_add_co_i32 s23, s22, -8
.LBB4_72:                               ;   in Loop: Header=BB4_30 Depth=1
	s_delay_alu instid0(SALU_CYCLE_1)
	s_cmp_gt_u32 s23, 7
	s_cbranch_scc1 .LBB4_77
; %bb.73:                               ;   in Loop: Header=BB4_30 Depth=1
	v_mov_b64_e32 v[22:23], 0
	s_cmp_eq_u32 s23, 0
	s_cbranch_scc1 .LBB4_76
; %bb.74:                               ;   in Loop: Header=BB4_30 Depth=1
	s_wait_xcnt 0x0
	s_mov_b64 s[14:15], 0
	s_mov_b64 s[16:17], s[2:3]
.LBB4_75:                               ;   Parent Loop BB4_30 Depth=1
                                        ; =>  This Inner Loop Header: Depth=2
	global_load_u8 v1, v9, s[16:17]
	s_add_co_i32 s23, s23, -1
	s_wait_xcnt 0x0
	s_add_nc_u64 s[16:17], s[16:17], 1
	s_cmp_lg_u32 s23, 0
	s_wait_loadcnt 0x0
	v_and_b32_e32 v8, 0xffff, v1
	s_delay_alu instid0(VALU_DEP_1) | instskip(SKIP_1) | instid1(VALU_DEP_1)
	v_lshlrev_b64_e32 v[24:25], s14, v[8:9]
	s_add_nc_u64 s[14:15], s[14:15], 8
	v_or_b32_e32 v22, v24, v22
	s_delay_alu instid0(VALU_DEP_2)
	v_or_b32_e32 v23, v25, v23
	s_cbranch_scc1 .LBB4_75
.LBB4_76:                               ;   in Loop: Header=BB4_30 Depth=1
	s_wait_xcnt 0x0
	s_cbranch_execz .LBB4_78
	s_branch .LBB4_79
.LBB4_77:                               ;   in Loop: Header=BB4_30 Depth=1
	s_wait_xcnt 0x0
.LBB4_78:                               ;   in Loop: Header=BB4_30 Depth=1
	global_load_b64 v[22:23], v9, s[2:3]
.LBB4_79:                               ;   in Loop: Header=BB4_30 Depth=1
	s_wait_xcnt 0x0
	v_readfirstlane_b32 s2, v29
	v_mov_b64_e32 v[30:31], 0
	s_delay_alu instid0(VALU_DEP_2)
	v_cmp_eq_u32_e64 s2, s2, v29
	s_and_saveexec_b32 s3, s2
	s_cbranch_execz .LBB4_85
; %bb.80:                               ;   in Loop: Header=BB4_30 Depth=1
	global_load_b64 v[26:27], v9, s[4:5] offset:24 scope:SCOPE_SYS
	s_wait_loadcnt 0x0
	global_inv scope:SCOPE_SYS
	s_clause 0x1
	global_load_b64 v[24:25], v9, s[4:5] offset:40
	global_load_b64 v[30:31], v9, s[4:5]
	s_mov_b32 s14, exec_lo
	s_wait_loadcnt 0x1
	v_and_b32_e32 v24, v24, v26
	v_and_b32_e32 v25, v25, v27
	s_delay_alu instid0(VALU_DEP_1) | instskip(SKIP_1) | instid1(VALU_DEP_1)
	v_mul_u64_e32 v[24:25], 24, v[24:25]
	s_wait_loadcnt 0x0
	v_add_nc_u64_e32 v[24:25], v[30:31], v[24:25]
	global_load_b64 v[24:25], v[24:25], off scope:SCOPE_SYS
	s_wait_xcnt 0x0
	s_wait_loadcnt 0x0
	global_atomic_cmpswap_b64 v[30:31], v9, v[24:27], s[4:5] offset:24 th:TH_ATOMIC_RETURN scope:SCOPE_SYS
	s_wait_loadcnt 0x0
	global_inv scope:SCOPE_SYS
	s_wait_xcnt 0x0
	v_cmpx_ne_u64_e64 v[30:31], v[26:27]
	s_cbranch_execz .LBB4_84
; %bb.81:                               ;   in Loop: Header=BB4_30 Depth=1
	s_mov_b32 s15, 0
.LBB4_82:                               ;   Parent Loop BB4_30 Depth=1
                                        ; =>  This Inner Loop Header: Depth=2
	s_sleep 1
	s_clause 0x1
	global_load_b64 v[24:25], v9, s[4:5] offset:40
	global_load_b64 v[32:33], v9, s[4:5]
	v_mov_b64_e32 v[26:27], v[30:31]
	s_wait_loadcnt 0x1
	s_delay_alu instid0(VALU_DEP_1) | instskip(SKIP_1) | instid1(VALU_DEP_1)
	v_and_b32_e32 v1, v24, v26
	s_wait_loadcnt 0x0
	v_mad_nc_u64_u32 v[30:31], v1, 24, v[32:33]
	s_delay_alu instid0(VALU_DEP_3) | instskip(NEXT) | instid1(VALU_DEP_1)
	v_and_b32_e32 v1, v25, v27
	v_mad_u32 v31, v1, 24, v31
	global_load_b64 v[24:25], v[30:31], off scope:SCOPE_SYS
	s_wait_xcnt 0x0
	s_wait_loadcnt 0x0
	global_atomic_cmpswap_b64 v[30:31], v9, v[24:27], s[4:5] offset:24 th:TH_ATOMIC_RETURN scope:SCOPE_SYS
	s_wait_loadcnt 0x0
	global_inv scope:SCOPE_SYS
	v_cmp_eq_u64_e32 vcc_lo, v[30:31], v[26:27]
	s_or_b32 s15, vcc_lo, s15
	s_wait_xcnt 0x0
	s_and_not1_b32 exec_lo, exec_lo, s15
	s_cbranch_execnz .LBB4_82
; %bb.83:                               ;   in Loop: Header=BB4_30 Depth=1
	s_or_b32 exec_lo, exec_lo, s15
.LBB4_84:                               ;   in Loop: Header=BB4_30 Depth=1
	s_delay_alu instid0(SALU_CYCLE_1)
	s_or_b32 exec_lo, exec_lo, s14
.LBB4_85:                               ;   in Loop: Header=BB4_30 Depth=1
	s_delay_alu instid0(SALU_CYCLE_1)
	s_or_b32 exec_lo, exec_lo, s3
	s_clause 0x1
	global_load_b64 v[32:33], v9, s[4:5] offset:40
	global_load_b128 v[24:27], v9, s[4:5]
	v_readfirstlane_b32 s14, v30
	v_readfirstlane_b32 s15, v31
	s_mov_b32 s3, exec_lo
	s_wait_loadcnt 0x1
	v_and_b32_e32 v32, s14, v32
	v_and_b32_e32 v33, s15, v33
	s_delay_alu instid0(VALU_DEP_1) | instskip(SKIP_1) | instid1(VALU_DEP_1)
	v_mul_u64_e32 v[30:31], 24, v[32:33]
	s_wait_loadcnt 0x0
	v_add_nc_u64_e32 v[30:31], v[24:25], v[30:31]
	s_wait_xcnt 0x0
	s_and_saveexec_b32 s16, s2
	s_cbranch_execz .LBB4_87
; %bb.86:                               ;   in Loop: Header=BB4_30 Depth=1
	v_mov_b32_e32 v8, s3
	global_store_b128 v[30:31], v[8:11], off offset:8
.LBB4_87:                               ;   in Loop: Header=BB4_30 Depth=1
	s_wait_xcnt 0x0
	s_or_b32 exec_lo, exec_lo, s16
	v_cmp_lt_u64_e64 vcc_lo, s[10:11], 57
	v_lshlrev_b64_e32 v[32:33], 12, v[32:33]
	v_and_b32_e32 v4, 0xffffff1f, v4
	s_lshl_b32 s3, s12, 2
	s_delay_alu instid0(SALU_CYCLE_1) | instskip(SKIP_1) | instid1(VALU_DEP_3)
	s_add_co_i32 s3, s3, 28
	v_cndmask_b32_e32 v1, 0, v28, vcc_lo
	v_add_nc_u64_e32 v[26:27], v[26:27], v[32:33]
	s_delay_alu instid0(VALU_DEP_2) | instskip(NEXT) | instid1(VALU_DEP_2)
	v_or_b32_e32 v1, v4, v1
	v_readfirstlane_b32 s16, v26
	s_delay_alu instid0(VALU_DEP_3) | instskip(NEXT) | instid1(VALU_DEP_3)
	v_readfirstlane_b32 s17, v27
	v_and_or_b32 v4, 0x1e0, s3, v1
	s_clause 0x3
	global_store_b128 v0, v[4:7], s[16:17]
	global_store_b128 v0, v[12:15], s[16:17] offset:16
	global_store_b128 v0, v[16:19], s[16:17] offset:32
	global_store_b128 v0, v[20:23], s[16:17] offset:48
	s_wait_xcnt 0x0
	s_and_saveexec_b32 s3, s2
	s_cbranch_execz .LBB4_95
; %bb.88:                               ;   in Loop: Header=BB4_30 Depth=1
	s_clause 0x1
	global_load_b64 v[16:17], v9, s[4:5] offset:32 scope:SCOPE_SYS
	global_load_b64 v[4:5], v9, s[4:5] offset:40
	s_mov_b32 s16, exec_lo
	v_dual_mov_b32 v14, s14 :: v_dual_mov_b32 v15, s15
	s_wait_loadcnt 0x0
	v_and_b32_e32 v5, s15, v5
	v_and_b32_e32 v4, s14, v4
	s_delay_alu instid0(VALU_DEP_1) | instskip(NEXT) | instid1(VALU_DEP_1)
	v_mul_u64_e32 v[4:5], 24, v[4:5]
	v_add_nc_u64_e32 v[12:13], v[24:25], v[4:5]
	global_store_b64 v[12:13], v[16:17], off
	global_wb scope:SCOPE_SYS
	s_wait_storecnt 0x0
	s_wait_xcnt 0x0
	global_atomic_cmpswap_b64 v[6:7], v9, v[14:17], s[4:5] offset:32 th:TH_ATOMIC_RETURN scope:SCOPE_SYS
	s_wait_loadcnt 0x0
	v_cmpx_ne_u64_e64 v[6:7], v[16:17]
	s_cbranch_execz .LBB4_91
; %bb.89:                               ;   in Loop: Header=BB4_30 Depth=1
	s_mov_b32 s17, 0
.LBB4_90:                               ;   Parent Loop BB4_30 Depth=1
                                        ; =>  This Inner Loop Header: Depth=2
	v_dual_mov_b32 v4, s14 :: v_dual_mov_b32 v5, s15
	s_sleep 1
	global_store_b64 v[12:13], v[6:7], off
	global_wb scope:SCOPE_SYS
	s_wait_storecnt 0x0
	s_wait_xcnt 0x0
	global_atomic_cmpswap_b64 v[4:5], v9, v[4:7], s[4:5] offset:32 th:TH_ATOMIC_RETURN scope:SCOPE_SYS
	s_wait_loadcnt 0x0
	v_cmp_eq_u64_e32 vcc_lo, v[4:5], v[6:7]
	v_mov_b64_e32 v[6:7], v[4:5]
	s_or_b32 s17, vcc_lo, s17
	s_delay_alu instid0(SALU_CYCLE_1)
	s_and_not1_b32 exec_lo, exec_lo, s17
	s_cbranch_execnz .LBB4_90
.LBB4_91:                               ;   in Loop: Header=BB4_30 Depth=1
	s_or_b32 exec_lo, exec_lo, s16
	global_load_b64 v[4:5], v9, s[4:5] offset:16
	s_mov_b32 s17, exec_lo
	s_mov_b32 s16, exec_lo
	v_mbcnt_lo_u32_b32 v1, s17, 0
	s_wait_xcnt 0x0
	s_delay_alu instid0(VALU_DEP_1)
	v_cmpx_eq_u32_e32 0, v1
	s_cbranch_execz .LBB4_93
; %bb.92:                               ;   in Loop: Header=BB4_30 Depth=1
	s_bcnt1_i32_b32 s17, s17
	s_delay_alu instid0(SALU_CYCLE_1)
	v_mov_b32_e32 v8, s17
	global_wb scope:SCOPE_SYS
	s_wait_loadcnt 0x0
	s_wait_storecnt 0x0
	global_atomic_add_u64 v[4:5], v[8:9], off offset:8 scope:SCOPE_SYS
.LBB4_93:                               ;   in Loop: Header=BB4_30 Depth=1
	s_wait_xcnt 0x0
	s_or_b32 exec_lo, exec_lo, s16
	s_wait_loadcnt 0x0
	global_load_b64 v[6:7], v[4:5], off offset:16
	s_wait_loadcnt 0x0
	v_cmp_eq_u64_e32 vcc_lo, 0, v[6:7]
	s_cbranch_vccnz .LBB4_95
; %bb.94:                               ;   in Loop: Header=BB4_30 Depth=1
	global_load_b32 v8, v[4:5], off offset:24
	s_wait_loadcnt 0x0
	v_readfirstlane_b32 s16, v8
	global_wb scope:SCOPE_SYS
	s_wait_storecnt 0x0
	s_wait_xcnt 0x0
	global_store_b64 v[6:7], v[8:9], off scope:SCOPE_SYS
	s_and_b32 m0, s16, 0xffffff
	s_sendmsg sendmsg(MSG_INTERRUPT)
.LBB4_95:                               ;   in Loop: Header=BB4_30 Depth=1
	s_wait_xcnt 0x0
	s_or_b32 exec_lo, exec_lo, s3
	v_mov_b32_e32 v1, v9
	s_delay_alu instid0(VALU_DEP_1)
	v_add_nc_u64_e32 v[4:5], v[26:27], v[0:1]
	s_branch .LBB4_99
.LBB4_96:                               ;   in Loop: Header=BB4_99 Depth=2
	s_wait_xcnt 0x0
	s_or_b32 exec_lo, exec_lo, s3
	s_delay_alu instid0(VALU_DEP_1)
	v_readfirstlane_b32 s3, v1
	s_cmp_eq_u32 s3, 0
	s_cbranch_scc1 .LBB4_98
; %bb.97:                               ;   in Loop: Header=BB4_99 Depth=2
	s_sleep 1
	s_cbranch_execnz .LBB4_99
	s_branch .LBB4_101
.LBB4_98:                               ;   in Loop: Header=BB4_30 Depth=1
	s_branch .LBB4_101
.LBB4_99:                               ;   Parent Loop BB4_30 Depth=1
                                        ; =>  This Inner Loop Header: Depth=2
	v_mov_b32_e32 v1, 1
	s_and_saveexec_b32 s3, s2
	s_cbranch_execz .LBB4_96
; %bb.100:                              ;   in Loop: Header=BB4_99 Depth=2
	global_load_b32 v1, v[30:31], off offset:20 scope:SCOPE_SYS
	s_wait_loadcnt 0x0
	global_inv scope:SCOPE_SYS
	v_and_b32_e32 v1, 1, v1
	s_branch .LBB4_96
.LBB4_101:                              ;   in Loop: Header=BB4_30 Depth=1
	global_load_b64 v[4:5], v[4:5], off
	s_wait_xcnt 0x0
	s_and_saveexec_b32 s16, s2
	s_cbranch_execz .LBB4_29
; %bb.102:                              ;   in Loop: Header=BB4_30 Depth=1
	s_clause 0x2
	global_load_b64 v[6:7], v9, s[4:5] offset:40
	global_load_b64 v[16:17], v9, s[4:5] offset:24 scope:SCOPE_SYS
	global_load_b64 v[12:13], v9, s[4:5]
	s_wait_loadcnt 0x2
	v_readfirstlane_b32 s22, v6
	v_readfirstlane_b32 s23, v7
	s_add_nc_u64 s[2:3], s[22:23], 1
	s_delay_alu instid0(SALU_CYCLE_1) | instskip(NEXT) | instid1(SALU_CYCLE_1)
	s_add_nc_u64 s[14:15], s[2:3], s[14:15]
	s_cmp_eq_u64 s[14:15], 0
	s_cselect_b32 s3, s3, s15
	s_cselect_b32 s2, s2, s14
	s_delay_alu instid0(SALU_CYCLE_1) | instskip(SKIP_1) | instid1(SALU_CYCLE_1)
	v_dual_mov_b32 v15, s3 :: v_dual_mov_b32 v14, s2
	s_and_b64 s[14:15], s[2:3], s[22:23]
	s_mul_u64 s[14:15], s[14:15], 24
	s_wait_loadcnt 0x0
	v_add_nc_u64_e32 v[6:7], s[14:15], v[12:13]
	global_store_b64 v[6:7], v[16:17], off
	global_wb scope:SCOPE_SYS
	s_wait_storecnt 0x0
	s_wait_xcnt 0x0
	global_atomic_cmpswap_b64 v[14:15], v9, v[14:17], s[4:5] offset:24 th:TH_ATOMIC_RETURN scope:SCOPE_SYS
	s_wait_loadcnt 0x0
	v_cmp_ne_u64_e32 vcc_lo, v[14:15], v[16:17]
	s_and_b32 exec_lo, exec_lo, vcc_lo
	s_cbranch_execz .LBB4_29
; %bb.103:                              ;   in Loop: Header=BB4_30 Depth=1
	s_mov_b32 s14, 0
.LBB4_104:                              ;   Parent Loop BB4_30 Depth=1
                                        ; =>  This Inner Loop Header: Depth=2
	v_dual_mov_b32 v12, s2 :: v_dual_mov_b32 v13, s3
	s_sleep 1
	global_store_b64 v[6:7], v[14:15], off
	global_wb scope:SCOPE_SYS
	s_wait_storecnt 0x0
	s_wait_xcnt 0x0
	global_atomic_cmpswap_b64 v[12:13], v9, v[12:15], s[4:5] offset:24 th:TH_ATOMIC_RETURN scope:SCOPE_SYS
	s_wait_loadcnt 0x0
	v_cmp_eq_u64_e32 vcc_lo, v[12:13], v[14:15]
	v_mov_b64_e32 v[14:15], v[12:13]
	s_or_b32 s14, vcc_lo, s14
	s_delay_alu instid0(SALU_CYCLE_1)
	s_and_not1_b32 exec_lo, exec_lo, s14
	s_cbranch_execnz .LBB4_104
	s_branch .LBB4_29
.LBB4_105:
	s_branch .LBB4_134
.LBB4_106:
                                        ; implicit-def: $vgpr4_vgpr5
	s_cbranch_execz .LBB4_134
; %bb.107:
	v_readfirstlane_b32 s2, v29
	s_wait_loadcnt 0x0
	v_mov_b64_e32 v[4:5], 0
	s_delay_alu instid0(VALU_DEP_2)
	v_cmp_eq_u32_e64 s2, s2, v29
	s_and_saveexec_b32 s3, s2
	s_cbranch_execz .LBB4_113
; %bb.108:
	v_mov_b32_e32 v1, 0
	s_mov_b32 s6, exec_lo
	global_load_b64 v[6:7], v1, s[4:5] offset:24 scope:SCOPE_SYS
	s_wait_loadcnt 0x0
	global_inv scope:SCOPE_SYS
	s_clause 0x1
	global_load_b64 v[4:5], v1, s[4:5] offset:40
	global_load_b64 v[8:9], v1, s[4:5]
	s_wait_loadcnt 0x1
	v_and_b32_e32 v4, v4, v6
	v_and_b32_e32 v5, v5, v7
	s_delay_alu instid0(VALU_DEP_1) | instskip(SKIP_1) | instid1(VALU_DEP_1)
	v_mul_u64_e32 v[4:5], 24, v[4:5]
	s_wait_loadcnt 0x0
	v_add_nc_u64_e32 v[4:5], v[8:9], v[4:5]
	global_load_b64 v[4:5], v[4:5], off scope:SCOPE_SYS
	s_wait_xcnt 0x0
	s_wait_loadcnt 0x0
	global_atomic_cmpswap_b64 v[4:5], v1, v[4:7], s[4:5] offset:24 th:TH_ATOMIC_RETURN scope:SCOPE_SYS
	s_wait_loadcnt 0x0
	global_inv scope:SCOPE_SYS
	s_wait_xcnt 0x0
	v_cmpx_ne_u64_e64 v[4:5], v[6:7]
	s_cbranch_execz .LBB4_112
; %bb.109:
	s_mov_b32 s7, 0
.LBB4_110:                              ; =>This Inner Loop Header: Depth=1
	s_sleep 1
	s_clause 0x1
	global_load_b64 v[8:9], v1, s[4:5] offset:40
	global_load_b64 v[10:11], v1, s[4:5]
	v_mov_b64_e32 v[6:7], v[4:5]
	s_wait_loadcnt 0x1
	s_delay_alu instid0(VALU_DEP_1) | instskip(NEXT) | instid1(VALU_DEP_2)
	v_and_b32_e32 v4, v8, v6
	v_and_b32_e32 v8, v9, v7
	s_wait_loadcnt 0x0
	s_delay_alu instid0(VALU_DEP_2) | instskip(NEXT) | instid1(VALU_DEP_1)
	v_mad_nc_u64_u32 v[4:5], v4, 24, v[10:11]
	v_mad_u32 v5, v8, 24, v5
	global_load_b64 v[4:5], v[4:5], off scope:SCOPE_SYS
	s_wait_xcnt 0x0
	s_wait_loadcnt 0x0
	global_atomic_cmpswap_b64 v[4:5], v1, v[4:7], s[4:5] offset:24 th:TH_ATOMIC_RETURN scope:SCOPE_SYS
	s_wait_loadcnt 0x0
	global_inv scope:SCOPE_SYS
	v_cmp_eq_u64_e32 vcc_lo, v[4:5], v[6:7]
	s_or_b32 s7, vcc_lo, s7
	s_wait_xcnt 0x0
	s_and_not1_b32 exec_lo, exec_lo, s7
	s_cbranch_execnz .LBB4_110
; %bb.111:
	s_or_b32 exec_lo, exec_lo, s7
.LBB4_112:
	s_delay_alu instid0(SALU_CYCLE_1)
	s_or_b32 exec_lo, exec_lo, s6
.LBB4_113:
	s_delay_alu instid0(SALU_CYCLE_1)
	s_or_b32 exec_lo, exec_lo, s3
	v_readfirstlane_b32 s6, v4
	v_mov_b32_e32 v1, 0
	v_readfirstlane_b32 s7, v5
	s_mov_b32 s3, exec_lo
	s_clause 0x1
	global_load_b64 v[10:11], v1, s[4:5] offset:40
	global_load_b128 v[6:9], v1, s[4:5]
	s_wait_loadcnt 0x1
	v_and_b32_e32 v4, s6, v10
	v_and_b32_e32 v5, s7, v11
	s_delay_alu instid0(VALU_DEP_1) | instskip(SKIP_1) | instid1(VALU_DEP_1)
	v_mul_u64_e32 v[10:11], 24, v[4:5]
	s_wait_loadcnt 0x0
	v_add_nc_u64_e32 v[10:11], v[6:7], v[10:11]
	s_wait_xcnt 0x0
	s_and_saveexec_b32 s10, s2
	s_cbranch_execz .LBB4_115
; %bb.114:
	v_mov_b64_e32 v[14:15], 0x100000002
	v_dual_mov_b32 v12, s3 :: v_dual_mov_b32 v13, v1
	global_store_b128 v[10:11], v[12:15], off offset:8
.LBB4_115:
	s_wait_xcnt 0x0
	s_or_b32 exec_lo, exec_lo, s10
	v_lshlrev_b64_e32 v[4:5], 12, v[4:5]
	s_mov_b32 s12, 0
	v_and_or_b32 v2, 0xffffff1f, v2, 32
	s_mov_b32 s13, s12
	s_mov_b32 s14, s12
	;; [unrolled: 1-line block ×3, first 2 shown]
	v_mov_b64_e32 v[12:13], s[12:13]
	v_add_nc_u64_e32 v[8:9], v[8:9], v[4:5]
	v_mov_b64_e32 v[14:15], s[14:15]
	v_dual_mov_b32 v4, v1 :: v_dual_mov_b32 v5, v1
	s_delay_alu instid0(VALU_DEP_3) | instskip(NEXT) | instid1(VALU_DEP_4)
	v_readfirstlane_b32 s10, v8
	v_readfirstlane_b32 s11, v9
	s_clause 0x3
	global_store_b128 v0, v[2:5], s[10:11]
	global_store_b128 v0, v[12:15], s[10:11] offset:16
	global_store_b128 v0, v[12:15], s[10:11] offset:32
	;; [unrolled: 1-line block ×3, first 2 shown]
	s_wait_xcnt 0x0
	s_and_saveexec_b32 s3, s2
	s_cbranch_execz .LBB4_123
; %bb.116:
	v_dual_mov_b32 v12, 0 :: v_dual_mov_b32 v15, s7
	s_mov_b32 s10, exec_lo
	s_clause 0x1
	global_load_b64 v[16:17], v12, s[4:5] offset:32 scope:SCOPE_SYS
	global_load_b64 v[2:3], v12, s[4:5] offset:40
	s_wait_loadcnt 0x0
	v_dual_mov_b32 v14, s6 :: v_dual_bitop2_b32 v3, s7, v3 bitop3:0x40
	v_and_b32_e32 v2, s6, v2
	s_delay_alu instid0(VALU_DEP_1) | instskip(NEXT) | instid1(VALU_DEP_1)
	v_mul_u64_e32 v[2:3], 24, v[2:3]
	v_add_nc_u64_e32 v[6:7], v[6:7], v[2:3]
	global_store_b64 v[6:7], v[16:17], off
	global_wb scope:SCOPE_SYS
	s_wait_storecnt 0x0
	s_wait_xcnt 0x0
	global_atomic_cmpswap_b64 v[4:5], v12, v[14:17], s[4:5] offset:32 th:TH_ATOMIC_RETURN scope:SCOPE_SYS
	s_wait_loadcnt 0x0
	v_cmpx_ne_u64_e64 v[4:5], v[16:17]
	s_cbranch_execz .LBB4_119
; %bb.117:
	s_mov_b32 s11, 0
.LBB4_118:                              ; =>This Inner Loop Header: Depth=1
	v_dual_mov_b32 v2, s6 :: v_dual_mov_b32 v3, s7
	s_sleep 1
	global_store_b64 v[6:7], v[4:5], off
	global_wb scope:SCOPE_SYS
	s_wait_storecnt 0x0
	s_wait_xcnt 0x0
	global_atomic_cmpswap_b64 v[2:3], v12, v[2:5], s[4:5] offset:32 th:TH_ATOMIC_RETURN scope:SCOPE_SYS
	s_wait_loadcnt 0x0
	v_cmp_eq_u64_e32 vcc_lo, v[2:3], v[4:5]
	v_mov_b64_e32 v[4:5], v[2:3]
	s_or_b32 s11, vcc_lo, s11
	s_delay_alu instid0(SALU_CYCLE_1)
	s_and_not1_b32 exec_lo, exec_lo, s11
	s_cbranch_execnz .LBB4_118
.LBB4_119:
	s_or_b32 exec_lo, exec_lo, s10
	v_mov_b32_e32 v5, 0
	s_mov_b32 s11, exec_lo
	s_mov_b32 s10, exec_lo
	v_mbcnt_lo_u32_b32 v4, s11, 0
	global_load_b64 v[2:3], v5, s[4:5] offset:16
	s_wait_xcnt 0x0
	v_cmpx_eq_u32_e32 0, v4
	s_cbranch_execz .LBB4_121
; %bb.120:
	s_bcnt1_i32_b32 s11, s11
	s_delay_alu instid0(SALU_CYCLE_1)
	v_mov_b32_e32 v4, s11
	global_wb scope:SCOPE_SYS
	s_wait_loadcnt 0x0
	s_wait_storecnt 0x0
	global_atomic_add_u64 v[2:3], v[4:5], off offset:8 scope:SCOPE_SYS
.LBB4_121:
	s_wait_xcnt 0x0
	s_or_b32 exec_lo, exec_lo, s10
	s_wait_loadcnt 0x0
	global_load_b64 v[4:5], v[2:3], off offset:16
	s_wait_loadcnt 0x0
	v_cmp_eq_u64_e32 vcc_lo, 0, v[4:5]
	s_cbranch_vccnz .LBB4_123
; %bb.122:
	global_load_b32 v2, v[2:3], off offset:24
	s_wait_xcnt 0x0
	v_mov_b32_e32 v3, 0
	s_wait_loadcnt 0x0
	v_readfirstlane_b32 s10, v2
	global_wb scope:SCOPE_SYS
	s_wait_storecnt 0x0
	global_store_b64 v[4:5], v[2:3], off scope:SCOPE_SYS
	s_and_b32 m0, s10, 0xffffff
	s_sendmsg sendmsg(MSG_INTERRUPT)
.LBB4_123:
	s_wait_xcnt 0x0
	s_or_b32 exec_lo, exec_lo, s3
	v_add_nc_u64_e32 v[2:3], v[8:9], v[0:1]
	s_branch .LBB4_127
.LBB4_124:                              ;   in Loop: Header=BB4_127 Depth=1
	s_wait_xcnt 0x0
	s_or_b32 exec_lo, exec_lo, s3
	s_delay_alu instid0(VALU_DEP_1)
	v_readfirstlane_b32 s3, v1
	s_cmp_eq_u32 s3, 0
	s_cbranch_scc1 .LBB4_126
; %bb.125:                              ;   in Loop: Header=BB4_127 Depth=1
	s_sleep 1
	s_cbranch_execnz .LBB4_127
	s_branch .LBB4_129
.LBB4_126:
	s_branch .LBB4_129
.LBB4_127:                              ; =>This Inner Loop Header: Depth=1
	v_mov_b32_e32 v1, 1
	s_and_saveexec_b32 s3, s2
	s_cbranch_execz .LBB4_124
; %bb.128:                              ;   in Loop: Header=BB4_127 Depth=1
	global_load_b32 v1, v[10:11], off offset:20 scope:SCOPE_SYS
	s_wait_loadcnt 0x0
	global_inv scope:SCOPE_SYS
	v_and_b32_e32 v1, 1, v1
	s_branch .LBB4_124
.LBB4_129:
	global_load_b64 v[4:5], v[2:3], off
	s_wait_xcnt 0x0
	s_and_saveexec_b32 s10, s2
	s_cbranch_execz .LBB4_133
; %bb.130:
	v_mov_b32_e32 v1, 0
	s_clause 0x2
	global_load_b64 v[2:3], v1, s[4:5] offset:40
	global_load_b64 v[10:11], v1, s[4:5] offset:24 scope:SCOPE_SYS
	global_load_b64 v[6:7], v1, s[4:5]
	s_wait_loadcnt 0x2
	v_readfirstlane_b32 s12, v2
	v_readfirstlane_b32 s13, v3
	s_add_nc_u64 s[2:3], s[12:13], 1
	s_delay_alu instid0(SALU_CYCLE_1) | instskip(NEXT) | instid1(SALU_CYCLE_1)
	s_add_nc_u64 s[6:7], s[2:3], s[6:7]
	s_cmp_eq_u64 s[6:7], 0
	s_cselect_b32 s3, s3, s7
	s_cselect_b32 s2, s2, s6
	v_mov_b32_e32 v9, s3
	s_and_b64 s[6:7], s[2:3], s[12:13]
	v_mov_b32_e32 v8, s2
	s_mul_u64 s[6:7], s[6:7], 24
	s_wait_loadcnt 0x0
	v_add_nc_u64_e32 v[2:3], s[6:7], v[6:7]
	global_store_b64 v[2:3], v[10:11], off
	global_wb scope:SCOPE_SYS
	s_wait_storecnt 0x0
	s_wait_xcnt 0x0
	global_atomic_cmpswap_b64 v[8:9], v1, v[8:11], s[4:5] offset:24 th:TH_ATOMIC_RETURN scope:SCOPE_SYS
	s_wait_loadcnt 0x0
	v_cmp_ne_u64_e32 vcc_lo, v[8:9], v[10:11]
	s_and_b32 exec_lo, exec_lo, vcc_lo
	s_cbranch_execz .LBB4_133
; %bb.131:
	s_mov_b32 s6, 0
.LBB4_132:                              ; =>This Inner Loop Header: Depth=1
	v_dual_mov_b32 v6, s2 :: v_dual_mov_b32 v7, s3
	s_sleep 1
	global_store_b64 v[2:3], v[8:9], off
	global_wb scope:SCOPE_SYS
	s_wait_storecnt 0x0
	s_wait_xcnt 0x0
	global_atomic_cmpswap_b64 v[6:7], v1, v[6:9], s[4:5] offset:24 th:TH_ATOMIC_RETURN scope:SCOPE_SYS
	s_wait_loadcnt 0x0
	v_cmp_eq_u64_e32 vcc_lo, v[6:7], v[8:9]
	v_mov_b64_e32 v[8:9], v[6:7]
	s_or_b32 s6, vcc_lo, s6
	s_delay_alu instid0(SALU_CYCLE_1)
	s_and_not1_b32 exec_lo, exec_lo, s6
	s_cbranch_execnz .LBB4_132
.LBB4_133:
	s_or_b32 exec_lo, exec_lo, s10
.LBB4_134:
	v_readfirstlane_b32 s2, v29
	s_wait_loadcnt 0x0
	v_mov_b64_e32 v[2:3], 0
	s_delay_alu instid0(VALU_DEP_2)
	v_cmp_eq_u32_e64 s2, s2, v29
	s_and_saveexec_b32 s3, s2
	s_cbranch_execz .LBB4_140
; %bb.135:
	v_mov_b32_e32 v1, 0
	s_mov_b32 s6, exec_lo
	global_load_b64 v[8:9], v1, s[4:5] offset:24 scope:SCOPE_SYS
	s_wait_loadcnt 0x0
	global_inv scope:SCOPE_SYS
	s_clause 0x1
	global_load_b64 v[2:3], v1, s[4:5] offset:40
	global_load_b64 v[6:7], v1, s[4:5]
	s_wait_loadcnt 0x1
	v_and_b32_e32 v2, v2, v8
	v_and_b32_e32 v3, v3, v9
	s_delay_alu instid0(VALU_DEP_1) | instskip(SKIP_1) | instid1(VALU_DEP_1)
	v_mul_u64_e32 v[2:3], 24, v[2:3]
	s_wait_loadcnt 0x0
	v_add_nc_u64_e32 v[2:3], v[6:7], v[2:3]
	global_load_b64 v[6:7], v[2:3], off scope:SCOPE_SYS
	s_wait_xcnt 0x0
	s_wait_loadcnt 0x0
	global_atomic_cmpswap_b64 v[2:3], v1, v[6:9], s[4:5] offset:24 th:TH_ATOMIC_RETURN scope:SCOPE_SYS
	s_wait_loadcnt 0x0
	global_inv scope:SCOPE_SYS
	s_wait_xcnt 0x0
	v_cmpx_ne_u64_e64 v[2:3], v[8:9]
	s_cbranch_execz .LBB4_139
; %bb.136:
	s_mov_b32 s7, 0
.LBB4_137:                              ; =>This Inner Loop Header: Depth=1
	s_sleep 1
	s_clause 0x1
	global_load_b64 v[6:7], v1, s[4:5] offset:40
	global_load_b64 v[10:11], v1, s[4:5]
	v_mov_b64_e32 v[8:9], v[2:3]
	s_wait_loadcnt 0x1
	s_delay_alu instid0(VALU_DEP_1) | instskip(NEXT) | instid1(VALU_DEP_2)
	v_and_b32_e32 v2, v6, v8
	v_and_b32_e32 v6, v7, v9
	s_wait_loadcnt 0x0
	s_delay_alu instid0(VALU_DEP_2) | instskip(NEXT) | instid1(VALU_DEP_1)
	v_mad_nc_u64_u32 v[2:3], v2, 24, v[10:11]
	v_mad_u32 v3, v6, 24, v3
	global_load_b64 v[6:7], v[2:3], off scope:SCOPE_SYS
	s_wait_xcnt 0x0
	s_wait_loadcnt 0x0
	global_atomic_cmpswap_b64 v[2:3], v1, v[6:9], s[4:5] offset:24 th:TH_ATOMIC_RETURN scope:SCOPE_SYS
	s_wait_loadcnt 0x0
	global_inv scope:SCOPE_SYS
	v_cmp_eq_u64_e32 vcc_lo, v[2:3], v[8:9]
	s_or_b32 s7, vcc_lo, s7
	s_wait_xcnt 0x0
	s_and_not1_b32 exec_lo, exec_lo, s7
	s_cbranch_execnz .LBB4_137
; %bb.138:
	s_or_b32 exec_lo, exec_lo, s7
.LBB4_139:
	s_delay_alu instid0(SALU_CYCLE_1)
	s_or_b32 exec_lo, exec_lo, s6
.LBB4_140:
	s_delay_alu instid0(SALU_CYCLE_1)
	s_or_b32 exec_lo, exec_lo, s3
	v_readfirstlane_b32 s6, v2
	v_mov_b32_e32 v1, 0
	v_readfirstlane_b32 s7, v3
	s_mov_b32 s3, exec_lo
	s_clause 0x1
	global_load_b64 v[6:7], v1, s[4:5] offset:40
	global_load_b128 v[8:11], v1, s[4:5]
	s_wait_loadcnt 0x1
	v_and_b32_e32 v2, s6, v6
	v_and_b32_e32 v3, s7, v7
	s_delay_alu instid0(VALU_DEP_1) | instskip(SKIP_1) | instid1(VALU_DEP_1)
	v_mul_u64_e32 v[6:7], 24, v[2:3]
	s_wait_loadcnt 0x0
	v_add_nc_u64_e32 v[12:13], v[8:9], v[6:7]
	s_wait_xcnt 0x0
	s_and_saveexec_b32 s10, s2
	s_cbranch_execz .LBB4_142
; %bb.141:
	v_mov_b64_e32 v[16:17], 0x100000002
	v_dual_mov_b32 v14, s3 :: v_dual_mov_b32 v15, v1
	global_store_b128 v[12:13], v[14:17], off offset:8
.LBB4_142:
	s_wait_xcnt 0x0
	s_or_b32 exec_lo, exec_lo, s10
	v_lshlrev_b64_e32 v[2:3], 12, v[2:3]
	s_mul_i32 s3, s19, s20
	s_and_b32 s10, 0xffff, s21
	s_mov_b32 s12, 0
	s_mul_i32 s3, s3, s10
	s_mov_b32 s14, s12
	s_mov_b32 s15, s12
	v_add_nc_u64_e32 v[10:11], v[10:11], v[2:3]
	s_mov_b32 s13, s12
	s_lshr_b32 s3, s3, 5
	v_mov_b64_e32 v[16:17], s[14:15]
	v_mov_b64_e32 v[14:15], s[12:13]
	v_and_or_b32 v4, 0xffffff1f, v4, 32
	v_dual_mov_b32 v7, v1 :: v_dual_mov_b32 v6, s3
	v_readfirstlane_b32 s10, v10
	v_readfirstlane_b32 s11, v11
	s_clause 0x3
	global_store_b128 v0, v[4:7], s[10:11]
	global_store_b128 v0, v[14:17], s[10:11] offset:16
	global_store_b128 v0, v[14:17], s[10:11] offset:32
	;; [unrolled: 1-line block ×3, first 2 shown]
	s_wait_xcnt 0x0
	s_and_saveexec_b32 s3, s2
	s_cbranch_execz .LBB4_150
; %bb.143:
	v_dual_mov_b32 v14, 0 :: v_dual_mov_b32 v17, s7
	s_mov_b32 s10, exec_lo
	s_clause 0x1
	global_load_b64 v[18:19], v14, s[4:5] offset:32 scope:SCOPE_SYS
	global_load_b64 v[2:3], v14, s[4:5] offset:40
	s_wait_loadcnt 0x0
	v_dual_mov_b32 v16, s6 :: v_dual_bitop2_b32 v3, s7, v3 bitop3:0x40
	v_and_b32_e32 v2, s6, v2
	s_delay_alu instid0(VALU_DEP_1) | instskip(NEXT) | instid1(VALU_DEP_1)
	v_mul_u64_e32 v[2:3], 24, v[2:3]
	v_add_nc_u64_e32 v[6:7], v[8:9], v[2:3]
	global_store_b64 v[6:7], v[18:19], off
	global_wb scope:SCOPE_SYS
	s_wait_storecnt 0x0
	s_wait_xcnt 0x0
	global_atomic_cmpswap_b64 v[4:5], v14, v[16:19], s[4:5] offset:32 th:TH_ATOMIC_RETURN scope:SCOPE_SYS
	s_wait_loadcnt 0x0
	v_cmpx_ne_u64_e64 v[4:5], v[18:19]
	s_cbranch_execz .LBB4_146
; %bb.144:
	s_mov_b32 s11, 0
.LBB4_145:                              ; =>This Inner Loop Header: Depth=1
	v_dual_mov_b32 v2, s6 :: v_dual_mov_b32 v3, s7
	s_sleep 1
	global_store_b64 v[6:7], v[4:5], off
	global_wb scope:SCOPE_SYS
	s_wait_storecnt 0x0
	s_wait_xcnt 0x0
	global_atomic_cmpswap_b64 v[2:3], v14, v[2:5], s[4:5] offset:32 th:TH_ATOMIC_RETURN scope:SCOPE_SYS
	s_wait_loadcnt 0x0
	v_cmp_eq_u64_e32 vcc_lo, v[2:3], v[4:5]
	v_mov_b64_e32 v[4:5], v[2:3]
	s_or_b32 s11, vcc_lo, s11
	s_delay_alu instid0(SALU_CYCLE_1)
	s_and_not1_b32 exec_lo, exec_lo, s11
	s_cbranch_execnz .LBB4_145
.LBB4_146:
	s_or_b32 exec_lo, exec_lo, s10
	v_mov_b32_e32 v5, 0
	s_mov_b32 s11, exec_lo
	s_mov_b32 s10, exec_lo
	v_mbcnt_lo_u32_b32 v4, s11, 0
	global_load_b64 v[2:3], v5, s[4:5] offset:16
	s_wait_xcnt 0x0
	v_cmpx_eq_u32_e32 0, v4
	s_cbranch_execz .LBB4_148
; %bb.147:
	s_bcnt1_i32_b32 s11, s11
	s_delay_alu instid0(SALU_CYCLE_1)
	v_mov_b32_e32 v4, s11
	global_wb scope:SCOPE_SYS
	s_wait_loadcnt 0x0
	s_wait_storecnt 0x0
	global_atomic_add_u64 v[2:3], v[4:5], off offset:8 scope:SCOPE_SYS
.LBB4_148:
	s_wait_xcnt 0x0
	s_or_b32 exec_lo, exec_lo, s10
	s_wait_loadcnt 0x0
	global_load_b64 v[4:5], v[2:3], off offset:16
	s_wait_loadcnt 0x0
	v_cmp_eq_u64_e32 vcc_lo, 0, v[4:5]
	s_cbranch_vccnz .LBB4_150
; %bb.149:
	global_load_b32 v2, v[2:3], off offset:24
	s_wait_xcnt 0x0
	v_mov_b32_e32 v3, 0
	s_wait_loadcnt 0x0
	v_readfirstlane_b32 s10, v2
	global_wb scope:SCOPE_SYS
	s_wait_storecnt 0x0
	global_store_b64 v[4:5], v[2:3], off scope:SCOPE_SYS
	s_and_b32 m0, s10, 0xffffff
	s_sendmsg sendmsg(MSG_INTERRUPT)
.LBB4_150:
	s_wait_xcnt 0x0
	s_or_b32 exec_lo, exec_lo, s3
	v_add_nc_u64_e32 v[2:3], v[10:11], v[0:1]
	s_branch .LBB4_154
.LBB4_151:                              ;   in Loop: Header=BB4_154 Depth=1
	s_wait_xcnt 0x0
	s_or_b32 exec_lo, exec_lo, s3
	s_delay_alu instid0(VALU_DEP_1)
	v_readfirstlane_b32 s3, v1
	s_cmp_eq_u32 s3, 0
	s_cbranch_scc1 .LBB4_153
; %bb.152:                              ;   in Loop: Header=BB4_154 Depth=1
	s_sleep 1
	s_cbranch_execnz .LBB4_154
	s_branch .LBB4_156
.LBB4_153:
	s_branch .LBB4_156
.LBB4_154:                              ; =>This Inner Loop Header: Depth=1
	v_mov_b32_e32 v1, 1
	s_and_saveexec_b32 s3, s2
	s_cbranch_execz .LBB4_151
; %bb.155:                              ;   in Loop: Header=BB4_154 Depth=1
	global_load_b32 v1, v[12:13], off offset:20 scope:SCOPE_SYS
	s_wait_loadcnt 0x0
	global_inv scope:SCOPE_SYS
	v_and_b32_e32 v1, 1, v1
	s_branch .LBB4_151
.LBB4_156:
	global_load_b64 v[2:3], v[2:3], off
	s_wait_xcnt 0x0
	s_and_saveexec_b32 s10, s2
	s_cbranch_execz .LBB4_160
; %bb.157:
	v_mov_b32_e32 v1, 0
	s_clause 0x2
	global_load_b64 v[4:5], v1, s[4:5] offset:40
	global_load_b64 v[12:13], v1, s[4:5] offset:24 scope:SCOPE_SYS
	global_load_b64 v[6:7], v1, s[4:5]
	s_wait_loadcnt 0x2
	v_readfirstlane_b32 s12, v4
	v_readfirstlane_b32 s13, v5
	s_add_nc_u64 s[2:3], s[12:13], 1
	s_delay_alu instid0(SALU_CYCLE_1) | instskip(NEXT) | instid1(SALU_CYCLE_1)
	s_add_nc_u64 s[6:7], s[2:3], s[6:7]
	s_cmp_eq_u64 s[6:7], 0
	s_cselect_b32 s3, s3, s7
	s_cselect_b32 s2, s2, s6
	v_mov_b32_e32 v11, s3
	s_and_b64 s[6:7], s[2:3], s[12:13]
	v_mov_b32_e32 v10, s2
	s_mul_u64 s[6:7], s[6:7], 24
	s_wait_loadcnt 0x0
	v_add_nc_u64_e32 v[8:9], s[6:7], v[6:7]
	global_store_b64 v[8:9], v[12:13], off
	global_wb scope:SCOPE_SYS
	s_wait_storecnt 0x0
	s_wait_xcnt 0x0
	global_atomic_cmpswap_b64 v[6:7], v1, v[10:13], s[4:5] offset:24 th:TH_ATOMIC_RETURN scope:SCOPE_SYS
	s_wait_loadcnt 0x0
	v_cmp_ne_u64_e32 vcc_lo, v[6:7], v[12:13]
	s_and_b32 exec_lo, exec_lo, vcc_lo
	s_cbranch_execz .LBB4_160
; %bb.158:
	s_mov_b32 s6, 0
.LBB4_159:                              ; =>This Inner Loop Header: Depth=1
	v_dual_mov_b32 v4, s2 :: v_dual_mov_b32 v5, s3
	s_sleep 1
	global_store_b64 v[8:9], v[6:7], off
	global_wb scope:SCOPE_SYS
	s_wait_storecnt 0x0
	s_wait_xcnt 0x0
	global_atomic_cmpswap_b64 v[4:5], v1, v[4:7], s[4:5] offset:24 th:TH_ATOMIC_RETURN scope:SCOPE_SYS
	s_wait_loadcnt 0x0
	v_cmp_eq_u64_e32 vcc_lo, v[4:5], v[6:7]
	v_mov_b64_e32 v[6:7], v[4:5]
	s_or_b32 s6, vcc_lo, s6
	s_delay_alu instid0(SALU_CYCLE_1)
	s_and_not1_b32 exec_lo, exec_lo, s6
	s_cbranch_execnz .LBB4_159
.LBB4_160:
	s_or_b32 exec_lo, exec_lo, s10
	v_readfirstlane_b32 s2, v29
	v_mov_b64_e32 v[10:11], 0
	s_delay_alu instid0(VALU_DEP_2)
	v_cmp_eq_u32_e64 s2, s2, v29
	s_and_saveexec_b32 s3, s2
	s_cbranch_execz .LBB4_166
; %bb.161:
	v_mov_b32_e32 v1, 0
	s_mov_b32 s6, exec_lo
	global_load_b64 v[6:7], v1, s[4:5] offset:24 scope:SCOPE_SYS
	s_wait_loadcnt 0x0
	global_inv scope:SCOPE_SYS
	s_clause 0x1
	global_load_b64 v[4:5], v1, s[4:5] offset:40
	global_load_b64 v[8:9], v1, s[4:5]
	s_wait_loadcnt 0x1
	v_and_b32_e32 v4, v4, v6
	v_and_b32_e32 v5, v5, v7
	s_delay_alu instid0(VALU_DEP_1) | instskip(SKIP_1) | instid1(VALU_DEP_1)
	v_mul_u64_e32 v[4:5], 24, v[4:5]
	s_wait_loadcnt 0x0
	v_add_nc_u64_e32 v[4:5], v[8:9], v[4:5]
	global_load_b64 v[4:5], v[4:5], off scope:SCOPE_SYS
	s_wait_xcnt 0x0
	s_wait_loadcnt 0x0
	global_atomic_cmpswap_b64 v[10:11], v1, v[4:7], s[4:5] offset:24 th:TH_ATOMIC_RETURN scope:SCOPE_SYS
	s_wait_loadcnt 0x0
	global_inv scope:SCOPE_SYS
	s_wait_xcnt 0x0
	v_cmpx_ne_u64_e64 v[10:11], v[6:7]
	s_cbranch_execz .LBB4_165
; %bb.162:
	s_mov_b32 s7, 0
.LBB4_163:                              ; =>This Inner Loop Header: Depth=1
	s_sleep 1
	s_clause 0x1
	global_load_b64 v[4:5], v1, s[4:5] offset:40
	global_load_b64 v[8:9], v1, s[4:5]
	v_mov_b64_e32 v[6:7], v[10:11]
	s_wait_loadcnt 0x1
	s_delay_alu instid0(VALU_DEP_1) | instskip(SKIP_1) | instid1(VALU_DEP_1)
	v_and_b32_e32 v4, v4, v6
	s_wait_loadcnt 0x0
	v_mad_nc_u64_u32 v[8:9], v4, 24, v[8:9]
	s_delay_alu instid0(VALU_DEP_3) | instskip(NEXT) | instid1(VALU_DEP_1)
	v_and_b32_e32 v4, v5, v7
	v_mad_u32 v9, v4, 24, v9
	global_load_b64 v[4:5], v[8:9], off scope:SCOPE_SYS
	s_wait_xcnt 0x0
	s_wait_loadcnt 0x0
	global_atomic_cmpswap_b64 v[10:11], v1, v[4:7], s[4:5] offset:24 th:TH_ATOMIC_RETURN scope:SCOPE_SYS
	s_wait_loadcnt 0x0
	global_inv scope:SCOPE_SYS
	v_cmp_eq_u64_e32 vcc_lo, v[10:11], v[6:7]
	s_or_b32 s7, vcc_lo, s7
	s_wait_xcnt 0x0
	s_and_not1_b32 exec_lo, exec_lo, s7
	s_cbranch_execnz .LBB4_163
; %bb.164:
	s_or_b32 exec_lo, exec_lo, s7
.LBB4_165:
	s_delay_alu instid0(SALU_CYCLE_1)
	s_or_b32 exec_lo, exec_lo, s6
.LBB4_166:
	s_delay_alu instid0(SALU_CYCLE_1)
	s_or_b32 exec_lo, exec_lo, s3
	v_readfirstlane_b32 s6, v10
	v_mov_b32_e32 v5, 0
	v_readfirstlane_b32 s7, v11
	s_mov_b32 s3, exec_lo
	s_clause 0x1
	global_load_b64 v[12:13], v5, s[4:5] offset:40
	global_load_b128 v[6:9], v5, s[4:5]
	s_wait_loadcnt 0x1
	v_and_b32_e32 v12, s6, v12
	v_and_b32_e32 v13, s7, v13
	s_delay_alu instid0(VALU_DEP_1) | instskip(SKIP_1) | instid1(VALU_DEP_1)
	v_mul_u64_e32 v[10:11], 24, v[12:13]
	s_wait_loadcnt 0x0
	v_add_nc_u64_e32 v[10:11], v[6:7], v[10:11]
	s_wait_xcnt 0x0
	s_and_saveexec_b32 s10, s2
	s_cbranch_execz .LBB4_168
; %bb.167:
	v_mov_b32_e32 v4, s3
	v_mov_b64_e32 v[16:17], 0x100000002
	s_delay_alu instid0(VALU_DEP_2)
	v_mov_b64_e32 v[14:15], v[4:5]
	global_store_b128 v[10:11], v[14:17], off offset:8
.LBB4_168:
	s_wait_xcnt 0x0
	s_or_b32 exec_lo, exec_lo, s10
	v_lshlrev_b64_e32 v[12:13], 12, v[12:13]
	s_mov_b32 s12, 0
	v_and_or_b32 v2, 0xffffff1d, v2, 34
	s_mov_b32 s13, s12
	s_mov_b32 s14, s12
	;; [unrolled: 1-line block ×3, first 2 shown]
	v_mov_b32_e32 v4, 32
	v_add_nc_u64_e32 v[8:9], v[8:9], v[12:13]
	v_mov_b64_e32 v[12:13], s[12:13]
	v_mov_b64_e32 v[14:15], s[14:15]
	s_delay_alu instid0(VALU_DEP_3) | instskip(NEXT) | instid1(VALU_DEP_4)
	v_readfirstlane_b32 s10, v8
	v_readfirstlane_b32 s11, v9
	s_clause 0x3
	global_store_b128 v0, v[2:5], s[10:11]
	global_store_b128 v0, v[12:15], s[10:11] offset:16
	global_store_b128 v0, v[12:15], s[10:11] offset:32
	;; [unrolled: 1-line block ×3, first 2 shown]
	s_wait_xcnt 0x0
	s_and_saveexec_b32 s3, s2
	s_cbranch_execz .LBB4_176
; %bb.169:
	v_dual_mov_b32 v8, 0 :: v_dual_mov_b32 v13, s7
	s_mov_b32 s10, exec_lo
	s_clause 0x1
	global_load_b64 v[14:15], v8, s[4:5] offset:32 scope:SCOPE_SYS
	global_load_b64 v[0:1], v8, s[4:5] offset:40
	s_wait_loadcnt 0x0
	v_dual_mov_b32 v12, s6 :: v_dual_bitop2_b32 v1, s7, v1 bitop3:0x40
	v_and_b32_e32 v0, s6, v0
	s_delay_alu instid0(VALU_DEP_1) | instskip(NEXT) | instid1(VALU_DEP_1)
	v_mul_u64_e32 v[0:1], 24, v[0:1]
	v_add_nc_u64_e32 v[4:5], v[6:7], v[0:1]
	global_store_b64 v[4:5], v[14:15], off
	global_wb scope:SCOPE_SYS
	s_wait_storecnt 0x0
	s_wait_xcnt 0x0
	global_atomic_cmpswap_b64 v[2:3], v8, v[12:15], s[4:5] offset:32 th:TH_ATOMIC_RETURN scope:SCOPE_SYS
	s_wait_loadcnt 0x0
	v_cmpx_ne_u64_e64 v[2:3], v[14:15]
	s_cbranch_execz .LBB4_172
; %bb.170:
	s_mov_b32 s11, 0
.LBB4_171:                              ; =>This Inner Loop Header: Depth=1
	v_dual_mov_b32 v0, s6 :: v_dual_mov_b32 v1, s7
	s_sleep 1
	global_store_b64 v[4:5], v[2:3], off
	global_wb scope:SCOPE_SYS
	s_wait_storecnt 0x0
	s_wait_xcnt 0x0
	global_atomic_cmpswap_b64 v[0:1], v8, v[0:3], s[4:5] offset:32 th:TH_ATOMIC_RETURN scope:SCOPE_SYS
	s_wait_loadcnt 0x0
	v_cmp_eq_u64_e32 vcc_lo, v[0:1], v[2:3]
	v_mov_b64_e32 v[2:3], v[0:1]
	s_or_b32 s11, vcc_lo, s11
	s_delay_alu instid0(SALU_CYCLE_1)
	s_and_not1_b32 exec_lo, exec_lo, s11
	s_cbranch_execnz .LBB4_171
.LBB4_172:
	s_or_b32 exec_lo, exec_lo, s10
	v_mov_b32_e32 v3, 0
	s_mov_b32 s11, exec_lo
	s_mov_b32 s10, exec_lo
	v_mbcnt_lo_u32_b32 v2, s11, 0
	global_load_b64 v[0:1], v3, s[4:5] offset:16
	s_wait_xcnt 0x0
	v_cmpx_eq_u32_e32 0, v2
	s_cbranch_execz .LBB4_174
; %bb.173:
	s_bcnt1_i32_b32 s11, s11
	s_delay_alu instid0(SALU_CYCLE_1)
	v_mov_b32_e32 v2, s11
	global_wb scope:SCOPE_SYS
	s_wait_loadcnt 0x0
	s_wait_storecnt 0x0
	global_atomic_add_u64 v[0:1], v[2:3], off offset:8 scope:SCOPE_SYS
.LBB4_174:
	s_wait_xcnt 0x0
	s_or_b32 exec_lo, exec_lo, s10
	s_wait_loadcnt 0x0
	global_load_b64 v[2:3], v[0:1], off offset:16
	s_wait_loadcnt 0x0
	v_cmp_eq_u64_e32 vcc_lo, 0, v[2:3]
	s_cbranch_vccnz .LBB4_176
; %bb.175:
	global_load_b32 v0, v[0:1], off offset:24
	s_wait_xcnt 0x0
	v_mov_b32_e32 v1, 0
	s_wait_loadcnt 0x0
	v_readfirstlane_b32 s10, v0
	global_wb scope:SCOPE_SYS
	s_wait_storecnt 0x0
	global_store_b64 v[2:3], v[0:1], off scope:SCOPE_SYS
	s_and_b32 m0, s10, 0xffffff
	s_sendmsg sendmsg(MSG_INTERRUPT)
.LBB4_176:
	s_wait_xcnt 0x0
	s_or_b32 exec_lo, exec_lo, s3
	s_branch .LBB4_180
.LBB4_177:                              ;   in Loop: Header=BB4_180 Depth=1
	s_wait_xcnt 0x0
	s_or_b32 exec_lo, exec_lo, s3
	s_delay_alu instid0(VALU_DEP_1)
	v_readfirstlane_b32 s3, v0
	s_cmp_eq_u32 s3, 0
	s_cbranch_scc1 .LBB4_179
; %bb.178:                              ;   in Loop: Header=BB4_180 Depth=1
	s_sleep 1
	s_cbranch_execnz .LBB4_180
	s_branch .LBB4_182
.LBB4_179:
	s_branch .LBB4_182
.LBB4_180:                              ; =>This Inner Loop Header: Depth=1
	v_mov_b32_e32 v0, 1
	s_and_saveexec_b32 s3, s2
	s_cbranch_execz .LBB4_177
; %bb.181:                              ;   in Loop: Header=BB4_180 Depth=1
	global_load_b32 v0, v[10:11], off offset:20 scope:SCOPE_SYS
	s_wait_loadcnt 0x0
	global_inv scope:SCOPE_SYS
	v_and_b32_e32 v0, 1, v0
	s_branch .LBB4_177
.LBB4_182:
	s_and_b32 exec_lo, exec_lo, s2
	s_cbranch_execz .LBB4_186
; %bb.183:
	v_mov_b32_e32 v6, 0
	s_clause 0x2
	global_load_b64 v[0:1], v6, s[4:5] offset:40
	global_load_b64 v[10:11], v6, s[4:5] offset:24 scope:SCOPE_SYS
	global_load_b64 v[2:3], v6, s[4:5]
	s_wait_loadcnt 0x2
	v_readfirstlane_b32 s10, v0
	v_readfirstlane_b32 s11, v1
	s_add_nc_u64 s[2:3], s[10:11], 1
	s_delay_alu instid0(SALU_CYCLE_1) | instskip(NEXT) | instid1(SALU_CYCLE_1)
	s_add_nc_u64 s[6:7], s[2:3], s[6:7]
	s_cmp_eq_u64 s[6:7], 0
	s_cselect_b32 s3, s3, s7
	s_cselect_b32 s2, s2, s6
	v_mov_b32_e32 v9, s3
	s_and_b64 s[6:7], s[2:3], s[10:11]
	v_mov_b32_e32 v8, s2
	s_mul_u64 s[6:7], s[6:7], 24
	s_wait_loadcnt 0x0
	v_add_nc_u64_e32 v[4:5], s[6:7], v[2:3]
	global_store_b64 v[4:5], v[10:11], off
	global_wb scope:SCOPE_SYS
	s_wait_storecnt 0x0
	s_wait_xcnt 0x0
	global_atomic_cmpswap_b64 v[2:3], v6, v[8:11], s[4:5] offset:24 th:TH_ATOMIC_RETURN scope:SCOPE_SYS
	s_wait_loadcnt 0x0
	v_cmp_ne_u64_e32 vcc_lo, v[2:3], v[10:11]
	s_and_b32 exec_lo, exec_lo, vcc_lo
	s_cbranch_execz .LBB4_186
; %bb.184:
	s_mov_b32 s6, 0
.LBB4_185:                              ; =>This Inner Loop Header: Depth=1
	v_dual_mov_b32 v0, s2 :: v_dual_mov_b32 v1, s3
	s_sleep 1
	global_store_b64 v[4:5], v[2:3], off
	global_wb scope:SCOPE_SYS
	s_wait_storecnt 0x0
	s_wait_xcnt 0x0
	global_atomic_cmpswap_b64 v[0:1], v6, v[0:3], s[4:5] offset:24 th:TH_ATOMIC_RETURN scope:SCOPE_SYS
	s_wait_loadcnt 0x0
	v_cmp_eq_u64_e32 vcc_lo, v[0:1], v[2:3]
	v_mov_b64_e32 v[2:3], v[0:1]
	s_or_b32 s6, vcc_lo, s6
	s_delay_alu instid0(SALU_CYCLE_1)
	s_and_not1_b32 exec_lo, exec_lo, s6
	s_cbranch_execnz .LBB4_185
.LBB4_186:
	s_or_b32 exec_lo, exec_lo, s18
	s_load_b96 s[4:6], s[0:1], 0x0
	v_and_b32_e32 v3, 31, v36
	s_wait_loadcnt 0x0
	s_wait_storecnt 0x0
	s_barrier_signal -1
	s_barrier_wait -1
	s_wait_kmcnt 0x0
	s_cmp_lt_i32 s6, 1
	s_cbranch_scc1 .LBB4_200
; %bb.187:
	s_cmp_lt_i32 s6, 2
	s_cbranch_scc1 .LBB4_201
; %bb.188:
	s_cmp_eq_u32 s6, 2
                                        ; implicit-def: $vgpr2
	s_cbranch_scc0 .LBB4_396
; %bb.189:
	v_mbcnt_lo_u32_b32 v2, -1, 0
	s_mov_b32 s0, exec_lo
	s_delay_alu instid0(VALU_DEP_1) | instskip(SKIP_1) | instid1(VALU_DEP_2)
	v_dual_mov_b32 v0, 0 :: v_dual_lshlrev_b32 v1, 20, v2
	v_add_nc_u32_e32 v5, -1, v2
	v_add_nc_u64_e32 v[0:1], src_flat_scratch_base_lo, v[0:1]
	s_delay_alu instid0(VALU_DEP_2)
	v_cmp_gt_i32_e32 vcc_lo, 0, v5
	v_cndmask_b32_e32 v5, v5, v2, vcc_lo
	flat_store_b32 v[0:1], v3 scope:SCOPE_SYS
	s_wait_storecnt 0x0
	flat_load_b32 v4, v[0:1] scope:SCOPE_SYS
	s_wait_loadcnt 0x0
	v_lshlrev_b32_e32 v5, 2, v5
	s_wait_dscnt 0x0
	ds_bpermute_b32 v4, v5, v4
	s_wait_xcnt 0x0
	v_cmpx_ne_u32_e32 0, v3
	s_cbranch_execz .LBB4_191
; %bb.190:
	flat_load_b32 v5, v[0:1] scope:SCOPE_SYS
	s_wait_loadcnt_dscnt 0x0
	v_add_nc_u32_e32 v4, v5, v4
	flat_store_b32 v[0:1], v4 scope:SCOPE_SYS
	s_wait_storecnt 0x0
.LBB4_191:
	s_wait_xcnt 0x0
	s_or_b32 exec_lo, exec_lo, s0
	s_wait_dscnt 0x0
	flat_load_b32 v4, v[0:1] scope:SCOPE_SYS
	s_wait_loadcnt 0x0
	v_add_nc_u32_e32 v5, -2, v2
	s_mov_b32 s0, exec_lo
	s_delay_alu instid0(VALU_DEP_1) | instskip(SKIP_1) | instid1(VALU_DEP_1)
	v_cmp_gt_i32_e32 vcc_lo, 0, v5
	v_cndmask_b32_e32 v5, v5, v2, vcc_lo
	v_lshlrev_b32_e32 v5, 2, v5
	s_wait_dscnt 0x0
	ds_bpermute_b32 v4, v5, v4
	s_wait_xcnt 0x0
	v_cmpx_lt_u32_e32 1, v3
	s_cbranch_execz .LBB4_193
; %bb.192:
	flat_load_b32 v5, v[0:1] scope:SCOPE_SYS
	s_wait_loadcnt_dscnt 0x0
	v_add_nc_u32_e32 v4, v5, v4
	flat_store_b32 v[0:1], v4 scope:SCOPE_SYS
	s_wait_storecnt 0x0
.LBB4_193:
	s_wait_xcnt 0x0
	s_or_b32 exec_lo, exec_lo, s0
	s_wait_dscnt 0x0
	flat_load_b32 v4, v[0:1] scope:SCOPE_SYS
	s_wait_loadcnt 0x0
	v_add_nc_u32_e32 v5, -4, v2
	s_mov_b32 s0, exec_lo
	s_delay_alu instid0(VALU_DEP_1) | instskip(SKIP_1) | instid1(VALU_DEP_1)
	v_cmp_gt_i32_e32 vcc_lo, 0, v5
	v_cndmask_b32_e32 v5, v5, v2, vcc_lo
	v_lshlrev_b32_e32 v5, 2, v5
	s_wait_dscnt 0x0
	ds_bpermute_b32 v4, v5, v4
	s_wait_xcnt 0x0
	v_cmpx_lt_u32_e32 3, v3
	;; [unrolled: 23-line block ×4, first 2 shown]
	s_cbranch_execz .LBB4_199
; %bb.198:
	flat_load_b32 v4, v[0:1] scope:SCOPE_SYS
	s_wait_loadcnt_dscnt 0x0
	v_add_nc_u32_e32 v2, v4, v2
	flat_store_b32 v[0:1], v2 scope:SCOPE_SYS
	s_wait_storecnt 0x0
.LBB4_199:
	s_wait_xcnt 0x0
	s_or_b32 exec_lo, exec_lo, s0
	s_wait_dscnt 0x0
	flat_load_b32 v2, v[0:1] scope:SCOPE_SYS
	s_wait_loadcnt 0x0
	s_wait_dscnt 0x0
	global_store_b32 v36, v2, s[4:5] scale_offset
	s_cbranch_execz .LBB4_202
	s_branch .LBB4_203
.LBB4_200:
                                        ; implicit-def: $vgpr2
	s_branch .LBB4_204
.LBB4_201:
                                        ; implicit-def: $vgpr2
.LBB4_202:
	s_wait_xcnt 0x1
	v_mbcnt_lo_u32_b32 v0, -1, 0
	s_wait_xcnt 0x0
	s_delay_alu instid0(VALU_DEP_1) | instskip(SKIP_2) | instid1(VALU_DEP_2)
	v_xor_b32_e32 v2, 8, v0
	v_xor_b32_e32 v1, 16, v0
	;; [unrolled: 1-line block ×3, first 2 shown]
	v_cmp_gt_i32_e32 vcc_lo, 32, v1
	v_cndmask_b32_e32 v1, v0, v1, vcc_lo
	v_cmp_gt_i32_e32 vcc_lo, 32, v2
	v_cndmask_b32_e32 v2, v0, v2, vcc_lo
	v_cmp_gt_i32_e32 vcc_lo, 32, v4
	s_delay_alu instid0(VALU_DEP_2)
	v_dual_lshlrev_b32 v2, 2, v2 :: v_dual_lshlrev_b32 v1, 2, v1
	ds_bpermute_b32 v1, v1, v3
	s_wait_dscnt 0x0
	v_add_nc_u32_e32 v1, v1, v3
	ds_bpermute_b32 v2, v2, v1
	s_wait_dscnt 0x0
	v_dual_cndmask_b32 v4, v0, v4 :: v_dual_add_nc_u32 v1, v2, v1
	s_delay_alu instid0(VALU_DEP_1) | instskip(SKIP_3) | instid1(VALU_DEP_1)
	v_lshlrev_b32_e32 v4, 2, v4
	ds_bpermute_b32 v2, v4, v1
	s_wait_dscnt 0x0
	v_dual_add_nc_u32 v1, v2, v1 :: v_dual_bitop2_b32 v4, 2, v0 bitop3:0x14
	v_cmp_gt_i32_e32 vcc_lo, 32, v4
	v_cndmask_b32_e32 v4, v0, v4, vcc_lo
	s_delay_alu instid0(VALU_DEP_1) | instskip(SKIP_2) | instid1(VALU_DEP_1)
	v_lshlrev_b32_e32 v4, 2, v4
	ds_bpermute_b32 v2, v4, v1
	v_xor_b32_e32 v4, 1, v0
	v_cmp_gt_i32_e32 vcc_lo, 32, v4
	v_cndmask_b32_e32 v0, v0, v4, vcc_lo
	v_cmp_eq_u32_e32 vcc_lo, 0, v3
	s_wait_dscnt 0x0
	s_delay_alu instid0(VALU_DEP_2) | instskip(SKIP_3) | instid1(VALU_DEP_1)
	v_dual_lshlrev_b32 v0, 2, v0 :: v_dual_add_nc_u32 v1, v2, v1
	ds_bpermute_b32 v0, v0, v1
	s_wait_dscnt 0x0
	v_add_nc_u32_e32 v0, v0, v1
	v_cndmask_b32_e32 v2, -1, v0, vcc_lo
.LBB4_203:
	s_cbranch_execnz .LBB4_208
.LBB4_204:
	s_cmp_lg_u32 s6, 0
                                        ; implicit-def: $vgpr2
	s_cbranch_scc1 .LBB4_208
; %bb.205:
	s_wait_xcnt 0x0
	v_mbcnt_lo_u32_b32 v2, -1, 0
	s_mov_b32 s0, exec_lo
	s_delay_alu instid0(VALU_DEP_1) | instskip(SKIP_2) | instid1(VALU_DEP_3)
	v_dual_mov_b32 v0, 4 :: v_dual_lshlrev_b32 v1, 20, v2
	v_lshl_or_b32 v6, v2, 2, 64
	v_cmp_gt_u32_e32 vcc_lo, 24, v2
	v_add_nc_u64_e32 v[0:1], src_flat_scratch_base_lo, v[0:1]
	flat_store_b32 v[0:1], v3 scope:SCOPE_SYS
	s_wait_storecnt 0x0
	flat_load_b32 v4, v[0:1] scope:SCOPE_SYS
	s_wait_loadcnt 0x0
	flat_load_b32 v5, v[0:1] scope:SCOPE_SYS
	s_wait_loadcnt_dscnt 0x1
	ds_bpermute_b32 v4, v6, v4
	v_cndmask_b32_e64 v6, 0, 8, vcc_lo
	v_cmp_gt_u32_e32 vcc_lo, 28, v2
	s_delay_alu instid0(VALU_DEP_2)
	v_add_lshl_u32 v6, v6, v2, 2
	s_wait_dscnt 0x0
	v_add_nc_u32_e32 v4, v5, v4
	flat_store_b32 v[0:1], v4 scope:SCOPE_SYS
	s_wait_storecnt 0x0
	flat_load_b32 v4, v[0:1] scope:SCOPE_SYS
	s_wait_loadcnt 0x0
	flat_load_b32 v5, v[0:1] scope:SCOPE_SYS
	s_wait_loadcnt_dscnt 0x1
	ds_bpermute_b32 v4, v6, v4
	v_cndmask_b32_e64 v6, 0, 4, vcc_lo
	v_cmp_gt_u32_e32 vcc_lo, 30, v2
	s_delay_alu instid0(VALU_DEP_2)
	v_add_lshl_u32 v6, v6, v2, 2
	s_wait_dscnt 0x0
	v_add_nc_u32_e32 v4, v5, v4
	flat_store_b32 v[0:1], v4 scope:SCOPE_SYS
	s_wait_storecnt 0x0
	flat_load_b32 v4, v[0:1] scope:SCOPE_SYS
	s_wait_loadcnt 0x0
	flat_load_b32 v5, v[0:1] scope:SCOPE_SYS
	s_wait_loadcnt_dscnt 0x1
	ds_bpermute_b32 v4, v6, v4
	v_cndmask_b32_e64 v6, 0, 2, vcc_lo
	v_cmp_ne_u32_e32 vcc_lo, 31, v2
	s_delay_alu instid0(VALU_DEP_2) | instskip(SKIP_2) | instid1(VALU_DEP_1)
	v_add_lshl_u32 v6, v6, v2, 2
	v_add_co_ci_u32_e64 v2, null, 0, v2, vcc_lo
	s_wait_dscnt 0x0
	v_dual_lshlrev_b32 v2, 2, v2 :: v_dual_add_nc_u32 v4, v5, v4
	flat_store_b32 v[0:1], v4 scope:SCOPE_SYS
	s_wait_storecnt 0x0
	flat_load_b32 v4, v[0:1] scope:SCOPE_SYS
	s_wait_loadcnt 0x0
	flat_load_b32 v5, v[0:1] scope:SCOPE_SYS
	s_wait_loadcnt_dscnt 0x1
	ds_bpermute_b32 v4, v6, v4
	s_wait_dscnt 0x0
	v_add_nc_u32_e32 v4, v5, v4
	flat_store_b32 v[0:1], v4 scope:SCOPE_SYS
	s_wait_storecnt 0x0
	flat_load_b32 v4, v[0:1] scope:SCOPE_SYS
	s_wait_loadcnt 0x0
	flat_load_b32 v5, v[0:1] scope:SCOPE_SYS
	s_wait_loadcnt_dscnt 0x1
	ds_bpermute_b32 v4, v2, v4
	s_wait_dscnt 0x0
	v_dual_mov_b32 v2, -1 :: v_dual_add_nc_u32 v4, v5, v4
	flat_store_b32 v[0:1], v4 scope:SCOPE_SYS
	s_wait_storecnt 0x0
	s_wait_xcnt 0x0
	v_cmpx_eq_u32_e32 0, v3
	s_cbranch_execz .LBB4_207
; %bb.206:
	flat_load_b32 v2, v[0:1] scope:SCOPE_SYS
	s_wait_loadcnt 0x0
.LBB4_207:
	s_wait_xcnt 0x0
	s_or_b32 exec_lo, exec_lo, s0
.LBB4_208:
	v_cmp_eq_u32_e32 vcc_lo, 0, v3
	s_cmp_lg_u32 s6, 2
	s_cselect_b32 s0, -1, 0
	s_delay_alu instid0(SALU_CYCLE_1)
	s_and_b32 s0, s0, vcc_lo
	s_wait_xcnt 0x0
	s_and_saveexec_b32 s1, s0
	s_cbranch_execz .LBB4_395
; %bb.209:
	s_load_b64 s[2:3], s[8:9], 0x50
	v_mbcnt_lo_u32_b32 v3, -1, 0
	v_mov_b64_e32 v[0:1], 0
	s_delay_alu instid0(VALU_DEP_2) | instskip(NEXT) | instid1(VALU_DEP_1)
	v_readfirstlane_b32 s0, v3
	v_cmp_eq_u32_e64 s0, s0, v3
	s_and_saveexec_b32 s1, s0
	s_cbranch_execz .LBB4_215
; %bb.210:
	v_mov_b32_e32 v4, 0
	s_mov_b32 s6, exec_lo
	s_wait_kmcnt 0x0
	global_load_b64 v[8:9], v4, s[2:3] offset:24 scope:SCOPE_SYS
	s_wait_loadcnt 0x0
	global_inv scope:SCOPE_SYS
	s_clause 0x1
	global_load_b64 v[0:1], v4, s[2:3] offset:40
	global_load_b64 v[6:7], v4, s[2:3]
	s_wait_loadcnt 0x1
	v_and_b32_e32 v0, v0, v8
	v_and_b32_e32 v1, v1, v9
	s_delay_alu instid0(VALU_DEP_1) | instskip(SKIP_1) | instid1(VALU_DEP_1)
	v_mul_u64_e32 v[0:1], 24, v[0:1]
	s_wait_loadcnt 0x0
	v_add_nc_u64_e32 v[0:1], v[6:7], v[0:1]
	global_load_b64 v[6:7], v[0:1], off scope:SCOPE_SYS
	s_wait_xcnt 0x0
	s_wait_loadcnt 0x0
	global_atomic_cmpswap_b64 v[0:1], v4, v[6:9], s[2:3] offset:24 th:TH_ATOMIC_RETURN scope:SCOPE_SYS
	s_wait_loadcnt 0x0
	global_inv scope:SCOPE_SYS
	s_wait_xcnt 0x0
	v_cmpx_ne_u64_e64 v[0:1], v[8:9]
	s_cbranch_execz .LBB4_214
; %bb.211:
	s_mov_b32 s7, 0
.LBB4_212:                              ; =>This Inner Loop Header: Depth=1
	s_sleep 1
	s_clause 0x1
	global_load_b64 v[6:7], v4, s[2:3] offset:40
	global_load_b64 v[10:11], v4, s[2:3]
	v_mov_b64_e32 v[8:9], v[0:1]
	s_wait_loadcnt 0x1
	s_delay_alu instid0(VALU_DEP_1) | instskip(NEXT) | instid1(VALU_DEP_2)
	v_and_b32_e32 v0, v6, v8
	v_and_b32_e32 v5, v7, v9
	s_wait_loadcnt 0x0
	s_delay_alu instid0(VALU_DEP_2) | instskip(NEXT) | instid1(VALU_DEP_1)
	v_mad_nc_u64_u32 v[0:1], v0, 24, v[10:11]
	v_mad_u32 v1, v5, 24, v1
	global_load_b64 v[6:7], v[0:1], off scope:SCOPE_SYS
	s_wait_xcnt 0x0
	s_wait_loadcnt 0x0
	global_atomic_cmpswap_b64 v[0:1], v4, v[6:9], s[2:3] offset:24 th:TH_ATOMIC_RETURN scope:SCOPE_SYS
	s_wait_loadcnt 0x0
	global_inv scope:SCOPE_SYS
	v_cmp_eq_u64_e32 vcc_lo, v[0:1], v[8:9]
	s_or_b32 s7, vcc_lo, s7
	s_wait_xcnt 0x0
	s_and_not1_b32 exec_lo, exec_lo, s7
	s_cbranch_execnz .LBB4_212
; %bb.213:
	s_or_b32 exec_lo, exec_lo, s7
.LBB4_214:
	s_delay_alu instid0(SALU_CYCLE_1)
	s_or_b32 exec_lo, exec_lo, s6
.LBB4_215:
	s_delay_alu instid0(SALU_CYCLE_1)
	s_or_b32 exec_lo, exec_lo, s1
	v_readfirstlane_b32 s6, v0
	v_mov_b32_e32 v5, 0
	v_readfirstlane_b32 s7, v1
	s_mov_b32 s1, exec_lo
	s_wait_kmcnt 0x0
	s_clause 0x1
	global_load_b64 v[6:7], v5, s[2:3] offset:40
	global_load_b128 v[8:11], v5, s[2:3]
	s_wait_loadcnt 0x1
	v_and_b32_e32 v12, s6, v6
	v_and_b32_e32 v13, s7, v7
	s_delay_alu instid0(VALU_DEP_1) | instskip(SKIP_1) | instid1(VALU_DEP_1)
	v_mul_u64_e32 v[0:1], 24, v[12:13]
	s_wait_loadcnt 0x0
	v_add_nc_u64_e32 v[0:1], v[8:9], v[0:1]
	s_wait_xcnt 0x0
	s_and_saveexec_b32 s8, s0
	s_cbranch_execz .LBB4_217
; %bb.216:
	v_mov_b64_e32 v[6:7], 0x100000002
	v_mov_b32_e32 v4, s1
	global_store_b128 v[0:1], v[4:7], off offset:8
.LBB4_217:
	s_wait_xcnt 0x0
	s_or_b32 exec_lo, exec_lo, s8
	v_lshlrev_b64_e32 v[6:7], 12, v[12:13]
	s_mov_b32 s8, 0
	v_dual_lshlrev_b32 v4, 6, v3 :: v_dual_mov_b32 v12, 33
	s_mov_b32 s10, s8
	s_mov_b32 s11, s8
	;; [unrolled: 1-line block ×3, first 2 shown]
	s_delay_alu instid0(VALU_DEP_2)
	v_add_nc_u64_e32 v[10:11], v[10:11], v[6:7]
	v_mov_b64_e32 v[18:19], s[10:11]
	v_mov_b64_e32 v[16:17], s[8:9]
	v_dual_mov_b32 v13, v5 :: v_dual_mov_b32 v14, v5
	v_mov_b32_e32 v15, v5
	v_readfirstlane_b32 s12, v10
	v_readfirstlane_b32 s13, v11
	s_clause 0x3
	global_store_b128 v4, v[12:15], s[12:13]
	global_store_b128 v4, v[16:19], s[12:13] offset:16
	global_store_b128 v4, v[16:19], s[12:13] offset:32
	;; [unrolled: 1-line block ×3, first 2 shown]
	s_wait_xcnt 0x0
	s_and_saveexec_b32 s1, s0
	s_cbranch_execz .LBB4_225
; %bb.218:
	v_dual_mov_b32 v14, 0 :: v_dual_mov_b32 v17, s7
	s_mov_b32 s8, exec_lo
	s_clause 0x1
	global_load_b64 v[18:19], v14, s[2:3] offset:32 scope:SCOPE_SYS
	global_load_b64 v[6:7], v14, s[2:3] offset:40
	s_wait_loadcnt 0x0
	v_dual_mov_b32 v16, s6 :: v_dual_bitop2_b32 v7, s7, v7 bitop3:0x40
	v_and_b32_e32 v6, s6, v6
	s_delay_alu instid0(VALU_DEP_1) | instskip(NEXT) | instid1(VALU_DEP_1)
	v_mul_u64_e32 v[6:7], 24, v[6:7]
	v_add_nc_u64_e32 v[12:13], v[8:9], v[6:7]
	global_store_b64 v[12:13], v[18:19], off
	global_wb scope:SCOPE_SYS
	s_wait_storecnt 0x0
	s_wait_xcnt 0x0
	global_atomic_cmpswap_b64 v[8:9], v14, v[16:19], s[2:3] offset:32 th:TH_ATOMIC_RETURN scope:SCOPE_SYS
	s_wait_loadcnt 0x0
	v_cmpx_ne_u64_e64 v[8:9], v[18:19]
	s_cbranch_execz .LBB4_221
; %bb.219:
	s_mov_b32 s9, 0
.LBB4_220:                              ; =>This Inner Loop Header: Depth=1
	v_dual_mov_b32 v6, s6 :: v_dual_mov_b32 v7, s7
	s_sleep 1
	global_store_b64 v[12:13], v[8:9], off
	global_wb scope:SCOPE_SYS
	s_wait_storecnt 0x0
	s_wait_xcnt 0x0
	global_atomic_cmpswap_b64 v[6:7], v14, v[6:9], s[2:3] offset:32 th:TH_ATOMIC_RETURN scope:SCOPE_SYS
	s_wait_loadcnt 0x0
	v_cmp_eq_u64_e32 vcc_lo, v[6:7], v[8:9]
	v_mov_b64_e32 v[8:9], v[6:7]
	s_or_b32 s9, vcc_lo, s9
	s_delay_alu instid0(SALU_CYCLE_1)
	s_and_not1_b32 exec_lo, exec_lo, s9
	s_cbranch_execnz .LBB4_220
.LBB4_221:
	s_or_b32 exec_lo, exec_lo, s8
	v_mov_b32_e32 v9, 0
	s_mov_b32 s9, exec_lo
	s_mov_b32 s8, exec_lo
	v_mbcnt_lo_u32_b32 v8, s9, 0
	global_load_b64 v[6:7], v9, s[2:3] offset:16
	s_wait_xcnt 0x0
	v_cmpx_eq_u32_e32 0, v8
	s_cbranch_execz .LBB4_223
; %bb.222:
	s_bcnt1_i32_b32 s9, s9
	s_delay_alu instid0(SALU_CYCLE_1)
	v_mov_b32_e32 v8, s9
	global_wb scope:SCOPE_SYS
	s_wait_loadcnt 0x0
	s_wait_storecnt 0x0
	global_atomic_add_u64 v[6:7], v[8:9], off offset:8 scope:SCOPE_SYS
.LBB4_223:
	s_wait_xcnt 0x0
	s_or_b32 exec_lo, exec_lo, s8
	s_wait_loadcnt 0x0
	global_load_b64 v[8:9], v[6:7], off offset:16
	s_wait_loadcnt 0x0
	v_cmp_eq_u64_e32 vcc_lo, 0, v[8:9]
	s_cbranch_vccnz .LBB4_225
; %bb.224:
	global_load_b32 v6, v[6:7], off offset:24
	s_wait_xcnt 0x0
	v_mov_b32_e32 v7, 0
	s_wait_loadcnt 0x0
	v_readfirstlane_b32 s8, v6
	global_wb scope:SCOPE_SYS
	s_wait_storecnt 0x0
	global_store_b64 v[8:9], v[6:7], off scope:SCOPE_SYS
	s_and_b32 m0, s8, 0xffffff
	s_sendmsg sendmsg(MSG_INTERRUPT)
.LBB4_225:
	s_wait_xcnt 0x0
	s_or_b32 exec_lo, exec_lo, s1
	v_add_nc_u64_e32 v[6:7], v[10:11], v[4:5]
	s_branch .LBB4_229
.LBB4_226:                              ;   in Loop: Header=BB4_229 Depth=1
	s_wait_xcnt 0x0
	s_or_b32 exec_lo, exec_lo, s1
	s_delay_alu instid0(VALU_DEP_1)
	v_readfirstlane_b32 s1, v5
	s_cmp_eq_u32 s1, 0
	s_cbranch_scc1 .LBB4_228
; %bb.227:                              ;   in Loop: Header=BB4_229 Depth=1
	s_sleep 1
	s_cbranch_execnz .LBB4_229
	s_branch .LBB4_231
.LBB4_228:
	s_branch .LBB4_231
.LBB4_229:                              ; =>This Inner Loop Header: Depth=1
	v_mov_b32_e32 v5, 1
	s_and_saveexec_b32 s1, s0
	s_cbranch_execz .LBB4_226
; %bb.230:                              ;   in Loop: Header=BB4_229 Depth=1
	global_load_b32 v5, v[0:1], off offset:20 scope:SCOPE_SYS
	s_wait_loadcnt 0x0
	global_inv scope:SCOPE_SYS
	v_and_b32_e32 v5, 1, v5
	s_branch .LBB4_226
.LBB4_231:
	global_load_b64 v[6:7], v[6:7], off
	s_wait_xcnt 0x0
	s_and_saveexec_b32 s8, s0
	s_cbranch_execz .LBB4_235
; %bb.232:
	v_mov_b32_e32 v5, 0
	s_clause 0x2
	global_load_b64 v[0:1], v5, s[2:3] offset:40
	global_load_b64 v[12:13], v5, s[2:3] offset:24 scope:SCOPE_SYS
	global_load_b64 v[8:9], v5, s[2:3]
	s_wait_loadcnt 0x2
	v_readfirstlane_b32 s10, v0
	v_readfirstlane_b32 s11, v1
	s_add_nc_u64 s[0:1], s[10:11], 1
	s_delay_alu instid0(SALU_CYCLE_1) | instskip(NEXT) | instid1(SALU_CYCLE_1)
	s_add_nc_u64 s[6:7], s[0:1], s[6:7]
	s_cmp_eq_u64 s[6:7], 0
	s_cselect_b32 s1, s1, s7
	s_cselect_b32 s0, s0, s6
	v_mov_b32_e32 v11, s1
	s_and_b64 s[6:7], s[0:1], s[10:11]
	v_mov_b32_e32 v10, s0
	s_mul_u64 s[6:7], s[6:7], 24
	s_wait_loadcnt 0x0
	v_add_nc_u64_e32 v[0:1], s[6:7], v[8:9]
	global_store_b64 v[0:1], v[12:13], off
	global_wb scope:SCOPE_SYS
	s_wait_storecnt 0x0
	s_wait_xcnt 0x0
	global_atomic_cmpswap_b64 v[10:11], v5, v[10:13], s[2:3] offset:24 th:TH_ATOMIC_RETURN scope:SCOPE_SYS
	s_wait_loadcnt 0x0
	v_cmp_ne_u64_e32 vcc_lo, v[10:11], v[12:13]
	s_and_b32 exec_lo, exec_lo, vcc_lo
	s_cbranch_execz .LBB4_235
; %bb.233:
	s_mov_b32 s6, 0
.LBB4_234:                              ; =>This Inner Loop Header: Depth=1
	v_dual_mov_b32 v8, s0 :: v_dual_mov_b32 v9, s1
	s_sleep 1
	global_store_b64 v[0:1], v[10:11], off
	global_wb scope:SCOPE_SYS
	s_wait_storecnt 0x0
	s_wait_xcnt 0x0
	global_atomic_cmpswap_b64 v[8:9], v5, v[8:11], s[2:3] offset:24 th:TH_ATOMIC_RETURN scope:SCOPE_SYS
	s_wait_loadcnt 0x0
	v_cmp_eq_u64_e32 vcc_lo, v[8:9], v[10:11]
	v_mov_b64_e32 v[10:11], v[8:9]
	s_or_b32 s6, vcc_lo, s6
	s_delay_alu instid0(SALU_CYCLE_1)
	s_and_not1_b32 exec_lo, exec_lo, s6
	s_cbranch_execnz .LBB4_234
.LBB4_235:
	s_or_b32 exec_lo, exec_lo, s8
	s_get_pc_i64 s[6:7]
	s_add_nc_u64 s[6:7], s[6:7], .str.1@rel64+4
	s_delay_alu instid0(SALU_CYCLE_1)
	s_cmp_lg_u64 s[6:7], 0
	s_cbranch_scc0 .LBB4_314
; %bb.236:
	v_mov_b64_e32 v[14:15], 0x100000002
	s_wait_loadcnt 0x0
	v_dual_mov_b32 v13, 0 :: v_dual_bitop2_b32 v0, 2, v6 bitop3:0x40
	v_dual_mov_b32 v9, v7 :: v_dual_bitop2_b32 v8, -3, v6 bitop3:0x40
	s_mov_b64 s[8:9], 58
	s_branch .LBB4_238
.LBB4_237:                              ;   in Loop: Header=BB4_238 Depth=1
	s_or_b32 exec_lo, exec_lo, s14
	s_sub_nc_u64 s[8:9], s[8:9], s[10:11]
	s_add_nc_u64 s[6:7], s[6:7], s[10:11]
	s_cmp_lg_u64 s[8:9], 0
	s_cbranch_scc0 .LBB4_313
.LBB4_238:                              ; =>This Loop Header: Depth=1
                                        ;     Child Loop BB4_241 Depth 2
                                        ;     Child Loop BB4_248 Depth 2
	;; [unrolled: 1-line block ×11, first 2 shown]
	v_min_u64 v[10:11], s[8:9], 56
	v_cmp_gt_u64_e64 s0, s[8:9], 7
	s_and_b32 vcc_lo, exec_lo, s0
	v_readfirstlane_b32 s10, v10
	v_readfirstlane_b32 s11, v11
	s_cbranch_vccnz .LBB4_243
; %bb.239:                              ;   in Loop: Header=BB4_238 Depth=1
	v_mov_b64_e32 v[10:11], 0
	s_cmp_eq_u64 s[8:9], 0
	s_cbranch_scc1 .LBB4_242
; %bb.240:                              ;   in Loop: Header=BB4_238 Depth=1
	s_mov_b64 s[0:1], 0
	s_mov_b64 s[12:13], 0
.LBB4_241:                              ;   Parent Loop BB4_238 Depth=1
                                        ; =>  This Inner Loop Header: Depth=2
	s_wait_xcnt 0x0
	s_add_nc_u64 s[14:15], s[6:7], s[12:13]
	s_add_nc_u64 s[12:13], s[12:13], 1
	global_load_u8 v1, v13, s[14:15]
	s_cmp_lg_u32 s10, s12
	s_wait_loadcnt 0x0
	v_and_b32_e32 v12, 0xffff, v1
	s_delay_alu instid0(VALU_DEP_1) | instskip(SKIP_1) | instid1(VALU_DEP_1)
	v_lshlrev_b64_e32 v[16:17], s0, v[12:13]
	s_add_nc_u64 s[0:1], s[0:1], 8
	v_or_b32_e32 v10, v16, v10
	s_delay_alu instid0(VALU_DEP_2)
	v_or_b32_e32 v11, v17, v11
	s_cbranch_scc1 .LBB4_241
.LBB4_242:                              ;   in Loop: Header=BB4_238 Depth=1
	s_mov_b64 s[12:13], s[6:7]
	s_mov_b32 s16, 0
	s_cbranch_execz .LBB4_244
	s_branch .LBB4_245
.LBB4_243:                              ;   in Loop: Header=BB4_238 Depth=1
	s_add_nc_u64 s[12:13], s[6:7], 8
	s_mov_b32 s16, 0
.LBB4_244:                              ;   in Loop: Header=BB4_238 Depth=1
	global_load_b64 v[10:11], v13, s[6:7]
	s_add_co_i32 s16, s10, -8
.LBB4_245:                              ;   in Loop: Header=BB4_238 Depth=1
	s_delay_alu instid0(SALU_CYCLE_1)
	s_cmp_gt_u32 s16, 7
	s_cbranch_scc1 .LBB4_250
; %bb.246:                              ;   in Loop: Header=BB4_238 Depth=1
	v_mov_b64_e32 v[16:17], 0
	s_cmp_eq_u32 s16, 0
	s_cbranch_scc1 .LBB4_249
; %bb.247:                              ;   in Loop: Header=BB4_238 Depth=1
	s_mov_b64 s[0:1], 0
	s_wait_xcnt 0x0
	s_mov_b64 s[14:15], 0
.LBB4_248:                              ;   Parent Loop BB4_238 Depth=1
                                        ; =>  This Inner Loop Header: Depth=2
	s_wait_xcnt 0x0
	s_add_nc_u64 s[18:19], s[12:13], s[14:15]
	s_add_nc_u64 s[14:15], s[14:15], 1
	global_load_u8 v1, v13, s[18:19]
	s_cmp_lg_u32 s16, s14
	s_wait_loadcnt 0x0
	v_and_b32_e32 v12, 0xffff, v1
	s_delay_alu instid0(VALU_DEP_1) | instskip(SKIP_1) | instid1(VALU_DEP_1)
	v_lshlrev_b64_e32 v[18:19], s0, v[12:13]
	s_add_nc_u64 s[0:1], s[0:1], 8
	v_or_b32_e32 v16, v18, v16
	s_delay_alu instid0(VALU_DEP_2)
	v_or_b32_e32 v17, v19, v17
	s_cbranch_scc1 .LBB4_248
.LBB4_249:                              ;   in Loop: Header=BB4_238 Depth=1
	s_wait_xcnt 0x0
	s_mov_b64 s[0:1], s[12:13]
	s_mov_b32 s17, 0
	s_cbranch_execz .LBB4_251
	s_branch .LBB4_252
.LBB4_250:                              ;   in Loop: Header=BB4_238 Depth=1
	s_add_nc_u64 s[0:1], s[12:13], 8
	s_wait_xcnt 0x0
                                        ; implicit-def: $vgpr16_vgpr17
	s_mov_b32 s17, 0
.LBB4_251:                              ;   in Loop: Header=BB4_238 Depth=1
	global_load_b64 v[16:17], v13, s[12:13]
	s_add_co_i32 s17, s16, -8
.LBB4_252:                              ;   in Loop: Header=BB4_238 Depth=1
	s_delay_alu instid0(SALU_CYCLE_1)
	s_cmp_gt_u32 s17, 7
	s_cbranch_scc1 .LBB4_257
; %bb.253:                              ;   in Loop: Header=BB4_238 Depth=1
	v_mov_b64_e32 v[18:19], 0
	s_cmp_eq_u32 s17, 0
	s_cbranch_scc1 .LBB4_256
; %bb.254:                              ;   in Loop: Header=BB4_238 Depth=1
	s_wait_xcnt 0x0
	s_mov_b64 s[12:13], 0
	s_mov_b64 s[14:15], 0
.LBB4_255:                              ;   Parent Loop BB4_238 Depth=1
                                        ; =>  This Inner Loop Header: Depth=2
	s_wait_xcnt 0x0
	s_add_nc_u64 s[18:19], s[0:1], s[14:15]
	s_add_nc_u64 s[14:15], s[14:15], 1
	global_load_u8 v1, v13, s[18:19]
	s_cmp_lg_u32 s17, s14
	s_wait_loadcnt 0x0
	v_and_b32_e32 v12, 0xffff, v1
	s_delay_alu instid0(VALU_DEP_1) | instskip(SKIP_1) | instid1(VALU_DEP_1)
	v_lshlrev_b64_e32 v[20:21], s12, v[12:13]
	s_add_nc_u64 s[12:13], s[12:13], 8
	v_or_b32_e32 v18, v20, v18
	s_delay_alu instid0(VALU_DEP_2)
	v_or_b32_e32 v19, v21, v19
	s_cbranch_scc1 .LBB4_255
.LBB4_256:                              ;   in Loop: Header=BB4_238 Depth=1
	s_wait_xcnt 0x0
	s_mov_b64 s[12:13], s[0:1]
	s_mov_b32 s16, 0
	s_cbranch_execz .LBB4_258
	s_branch .LBB4_259
.LBB4_257:                              ;   in Loop: Header=BB4_238 Depth=1
	s_wait_xcnt 0x0
	s_add_nc_u64 s[12:13], s[0:1], 8
	s_mov_b32 s16, 0
.LBB4_258:                              ;   in Loop: Header=BB4_238 Depth=1
	global_load_b64 v[18:19], v13, s[0:1]
	s_add_co_i32 s16, s17, -8
.LBB4_259:                              ;   in Loop: Header=BB4_238 Depth=1
	s_delay_alu instid0(SALU_CYCLE_1)
	s_cmp_gt_u32 s16, 7
	s_cbranch_scc1 .LBB4_264
; %bb.260:                              ;   in Loop: Header=BB4_238 Depth=1
	v_mov_b64_e32 v[20:21], 0
	s_cmp_eq_u32 s16, 0
	s_cbranch_scc1 .LBB4_263
; %bb.261:                              ;   in Loop: Header=BB4_238 Depth=1
	s_wait_xcnt 0x0
	s_mov_b64 s[0:1], 0
	s_mov_b64 s[14:15], 0
.LBB4_262:                              ;   Parent Loop BB4_238 Depth=1
                                        ; =>  This Inner Loop Header: Depth=2
	s_wait_xcnt 0x0
	s_add_nc_u64 s[18:19], s[12:13], s[14:15]
	s_add_nc_u64 s[14:15], s[14:15], 1
	global_load_u8 v1, v13, s[18:19]
	s_cmp_lg_u32 s16, s14
	s_wait_loadcnt 0x0
	v_and_b32_e32 v12, 0xffff, v1
	s_delay_alu instid0(VALU_DEP_1) | instskip(SKIP_1) | instid1(VALU_DEP_1)
	v_lshlrev_b64_e32 v[22:23], s0, v[12:13]
	s_add_nc_u64 s[0:1], s[0:1], 8
	v_or_b32_e32 v20, v22, v20
	s_delay_alu instid0(VALU_DEP_2)
	v_or_b32_e32 v21, v23, v21
	s_cbranch_scc1 .LBB4_262
.LBB4_263:                              ;   in Loop: Header=BB4_238 Depth=1
	s_wait_xcnt 0x0
	s_mov_b64 s[0:1], s[12:13]
	s_mov_b32 s17, 0
	s_cbranch_execz .LBB4_265
	s_branch .LBB4_266
.LBB4_264:                              ;   in Loop: Header=BB4_238 Depth=1
	s_wait_xcnt 0x0
	s_add_nc_u64 s[0:1], s[12:13], 8
                                        ; implicit-def: $vgpr20_vgpr21
	s_mov_b32 s17, 0
.LBB4_265:                              ;   in Loop: Header=BB4_238 Depth=1
	global_load_b64 v[20:21], v13, s[12:13]
	s_add_co_i32 s17, s16, -8
.LBB4_266:                              ;   in Loop: Header=BB4_238 Depth=1
	s_delay_alu instid0(SALU_CYCLE_1)
	s_cmp_gt_u32 s17, 7
	s_cbranch_scc1 .LBB4_271
; %bb.267:                              ;   in Loop: Header=BB4_238 Depth=1
	v_mov_b64_e32 v[22:23], 0
	s_cmp_eq_u32 s17, 0
	s_cbranch_scc1 .LBB4_270
; %bb.268:                              ;   in Loop: Header=BB4_238 Depth=1
	s_wait_xcnt 0x0
	s_mov_b64 s[12:13], 0
	s_mov_b64 s[14:15], 0
.LBB4_269:                              ;   Parent Loop BB4_238 Depth=1
                                        ; =>  This Inner Loop Header: Depth=2
	s_wait_xcnt 0x0
	s_add_nc_u64 s[18:19], s[0:1], s[14:15]
	s_add_nc_u64 s[14:15], s[14:15], 1
	global_load_u8 v1, v13, s[18:19]
	s_cmp_lg_u32 s17, s14
	s_wait_loadcnt 0x0
	v_and_b32_e32 v12, 0xffff, v1
	s_delay_alu instid0(VALU_DEP_1) | instskip(SKIP_1) | instid1(VALU_DEP_1)
	v_lshlrev_b64_e32 v[24:25], s12, v[12:13]
	s_add_nc_u64 s[12:13], s[12:13], 8
	v_or_b32_e32 v22, v24, v22
	s_delay_alu instid0(VALU_DEP_2)
	v_or_b32_e32 v23, v25, v23
	s_cbranch_scc1 .LBB4_269
.LBB4_270:                              ;   in Loop: Header=BB4_238 Depth=1
	s_wait_xcnt 0x0
	s_mov_b64 s[12:13], s[0:1]
	s_mov_b32 s16, 0
	s_cbranch_execz .LBB4_272
	s_branch .LBB4_273
.LBB4_271:                              ;   in Loop: Header=BB4_238 Depth=1
	s_wait_xcnt 0x0
	s_add_nc_u64 s[12:13], s[0:1], 8
	s_mov_b32 s16, 0
.LBB4_272:                              ;   in Loop: Header=BB4_238 Depth=1
	global_load_b64 v[22:23], v13, s[0:1]
	s_add_co_i32 s16, s17, -8
.LBB4_273:                              ;   in Loop: Header=BB4_238 Depth=1
	s_delay_alu instid0(SALU_CYCLE_1)
	s_cmp_gt_u32 s16, 7
	s_cbranch_scc1 .LBB4_278
; %bb.274:                              ;   in Loop: Header=BB4_238 Depth=1
	v_mov_b64_e32 v[24:25], 0
	s_cmp_eq_u32 s16, 0
	s_cbranch_scc1 .LBB4_277
; %bb.275:                              ;   in Loop: Header=BB4_238 Depth=1
	s_wait_xcnt 0x0
	s_mov_b64 s[0:1], 0
	s_mov_b64 s[14:15], 0
.LBB4_276:                              ;   Parent Loop BB4_238 Depth=1
                                        ; =>  This Inner Loop Header: Depth=2
	s_wait_xcnt 0x0
	s_add_nc_u64 s[18:19], s[12:13], s[14:15]
	s_add_nc_u64 s[14:15], s[14:15], 1
	global_load_u8 v1, v13, s[18:19]
	s_cmp_lg_u32 s16, s14
	s_wait_loadcnt 0x0
	v_and_b32_e32 v12, 0xffff, v1
	s_delay_alu instid0(VALU_DEP_1) | instskip(SKIP_1) | instid1(VALU_DEP_1)
	v_lshlrev_b64_e32 v[26:27], s0, v[12:13]
	s_add_nc_u64 s[0:1], s[0:1], 8
	v_or_b32_e32 v24, v26, v24
	s_delay_alu instid0(VALU_DEP_2)
	v_or_b32_e32 v25, v27, v25
	s_cbranch_scc1 .LBB4_276
.LBB4_277:                              ;   in Loop: Header=BB4_238 Depth=1
	s_wait_xcnt 0x0
	s_mov_b64 s[0:1], s[12:13]
	s_mov_b32 s17, 0
	s_cbranch_execz .LBB4_279
	s_branch .LBB4_280
.LBB4_278:                              ;   in Loop: Header=BB4_238 Depth=1
	s_wait_xcnt 0x0
	s_add_nc_u64 s[0:1], s[12:13], 8
                                        ; implicit-def: $vgpr24_vgpr25
	s_mov_b32 s17, 0
.LBB4_279:                              ;   in Loop: Header=BB4_238 Depth=1
	global_load_b64 v[24:25], v13, s[12:13]
	s_add_co_i32 s17, s16, -8
.LBB4_280:                              ;   in Loop: Header=BB4_238 Depth=1
	s_delay_alu instid0(SALU_CYCLE_1)
	s_cmp_gt_u32 s17, 7
	s_cbranch_scc1 .LBB4_285
; %bb.281:                              ;   in Loop: Header=BB4_238 Depth=1
	v_mov_b64_e32 v[26:27], 0
	s_cmp_eq_u32 s17, 0
	s_cbranch_scc1 .LBB4_284
; %bb.282:                              ;   in Loop: Header=BB4_238 Depth=1
	s_wait_xcnt 0x0
	s_mov_b64 s[12:13], 0
	s_mov_b64 s[14:15], s[0:1]
.LBB4_283:                              ;   Parent Loop BB4_238 Depth=1
                                        ; =>  This Inner Loop Header: Depth=2
	global_load_u8 v1, v13, s[14:15]
	s_add_co_i32 s17, s17, -1
	s_wait_xcnt 0x0
	s_add_nc_u64 s[14:15], s[14:15], 1
	s_cmp_lg_u32 s17, 0
	s_wait_loadcnt 0x0
	v_and_b32_e32 v12, 0xffff, v1
	s_delay_alu instid0(VALU_DEP_1) | instskip(SKIP_1) | instid1(VALU_DEP_1)
	v_lshlrev_b64_e32 v[28:29], s12, v[12:13]
	s_add_nc_u64 s[12:13], s[12:13], 8
	v_or_b32_e32 v26, v28, v26
	s_delay_alu instid0(VALU_DEP_2)
	v_or_b32_e32 v27, v29, v27
	s_cbranch_scc1 .LBB4_283
.LBB4_284:                              ;   in Loop: Header=BB4_238 Depth=1
	s_wait_xcnt 0x0
	s_cbranch_execz .LBB4_286
	s_branch .LBB4_287
.LBB4_285:                              ;   in Loop: Header=BB4_238 Depth=1
	s_wait_xcnt 0x0
.LBB4_286:                              ;   in Loop: Header=BB4_238 Depth=1
	global_load_b64 v[26:27], v13, s[0:1]
.LBB4_287:                              ;   in Loop: Header=BB4_238 Depth=1
	s_wait_xcnt 0x0
	v_readfirstlane_b32 s0, v3
	v_mov_b64_e32 v[32:33], 0
	s_delay_alu instid0(VALU_DEP_2)
	v_cmp_eq_u32_e64 s0, s0, v3
	s_and_saveexec_b32 s1, s0
	s_cbranch_execz .LBB4_293
; %bb.288:                              ;   in Loop: Header=BB4_238 Depth=1
	global_load_b64 v[30:31], v13, s[2:3] offset:24 scope:SCOPE_SYS
	s_wait_loadcnt 0x0
	global_inv scope:SCOPE_SYS
	s_clause 0x1
	global_load_b64 v[28:29], v13, s[2:3] offset:40
	global_load_b64 v[32:33], v13, s[2:3]
	s_mov_b32 s12, exec_lo
	s_wait_loadcnt 0x1
	v_and_b32_e32 v28, v28, v30
	v_and_b32_e32 v29, v29, v31
	s_delay_alu instid0(VALU_DEP_1) | instskip(SKIP_1) | instid1(VALU_DEP_1)
	v_mul_u64_e32 v[28:29], 24, v[28:29]
	s_wait_loadcnt 0x0
	v_add_nc_u64_e32 v[28:29], v[32:33], v[28:29]
	global_load_b64 v[28:29], v[28:29], off scope:SCOPE_SYS
	s_wait_xcnt 0x0
	s_wait_loadcnt 0x0
	global_atomic_cmpswap_b64 v[32:33], v13, v[28:31], s[2:3] offset:24 th:TH_ATOMIC_RETURN scope:SCOPE_SYS
	s_wait_loadcnt 0x0
	global_inv scope:SCOPE_SYS
	s_wait_xcnt 0x0
	v_cmpx_ne_u64_e64 v[32:33], v[30:31]
	s_cbranch_execz .LBB4_292
; %bb.289:                              ;   in Loop: Header=BB4_238 Depth=1
	s_mov_b32 s13, 0
.LBB4_290:                              ;   Parent Loop BB4_238 Depth=1
                                        ; =>  This Inner Loop Header: Depth=2
	s_sleep 1
	s_clause 0x1
	global_load_b64 v[28:29], v13, s[2:3] offset:40
	global_load_b64 v[34:35], v13, s[2:3]
	v_mov_b64_e32 v[30:31], v[32:33]
	s_wait_loadcnt 0x1
	s_delay_alu instid0(VALU_DEP_1) | instskip(SKIP_1) | instid1(VALU_DEP_1)
	v_and_b32_e32 v1, v28, v30
	s_wait_loadcnt 0x0
	v_mad_nc_u64_u32 v[32:33], v1, 24, v[34:35]
	s_delay_alu instid0(VALU_DEP_3) | instskip(NEXT) | instid1(VALU_DEP_1)
	v_and_b32_e32 v1, v29, v31
	v_mad_u32 v33, v1, 24, v33
	global_load_b64 v[28:29], v[32:33], off scope:SCOPE_SYS
	s_wait_xcnt 0x0
	s_wait_loadcnt 0x0
	global_atomic_cmpswap_b64 v[32:33], v13, v[28:31], s[2:3] offset:24 th:TH_ATOMIC_RETURN scope:SCOPE_SYS
	s_wait_loadcnt 0x0
	global_inv scope:SCOPE_SYS
	v_cmp_eq_u64_e32 vcc_lo, v[32:33], v[30:31]
	s_or_b32 s13, vcc_lo, s13
	s_wait_xcnt 0x0
	s_and_not1_b32 exec_lo, exec_lo, s13
	s_cbranch_execnz .LBB4_290
; %bb.291:                              ;   in Loop: Header=BB4_238 Depth=1
	s_or_b32 exec_lo, exec_lo, s13
.LBB4_292:                              ;   in Loop: Header=BB4_238 Depth=1
	s_delay_alu instid0(SALU_CYCLE_1)
	s_or_b32 exec_lo, exec_lo, s12
.LBB4_293:                              ;   in Loop: Header=BB4_238 Depth=1
	s_delay_alu instid0(SALU_CYCLE_1)
	s_or_b32 exec_lo, exec_lo, s1
	s_clause 0x1
	global_load_b64 v[34:35], v13, s[2:3] offset:40
	global_load_b128 v[28:31], v13, s[2:3]
	v_readfirstlane_b32 s12, v32
	v_readfirstlane_b32 s13, v33
	s_mov_b32 s1, exec_lo
	s_wait_loadcnt 0x1
	v_and_b32_e32 v34, s12, v34
	v_and_b32_e32 v35, s13, v35
	s_delay_alu instid0(VALU_DEP_1) | instskip(SKIP_1) | instid1(VALU_DEP_1)
	v_mul_u64_e32 v[32:33], 24, v[34:35]
	s_wait_loadcnt 0x0
	v_add_nc_u64_e32 v[32:33], v[28:29], v[32:33]
	s_wait_xcnt 0x0
	s_and_saveexec_b32 s14, s0
	s_cbranch_execz .LBB4_295
; %bb.294:                              ;   in Loop: Header=BB4_238 Depth=1
	v_mov_b32_e32 v12, s1
	global_store_b128 v[32:33], v[12:15], off offset:8
.LBB4_295:                              ;   in Loop: Header=BB4_238 Depth=1
	s_wait_xcnt 0x0
	s_or_b32 exec_lo, exec_lo, s14
	v_cmp_lt_u64_e64 vcc_lo, s[8:9], 57
	v_lshlrev_b64_e32 v[34:35], 12, v[34:35]
	v_and_b32_e32 v5, 0xffffff1f, v8
	s_lshl_b32 s1, s10, 2
	s_delay_alu instid0(SALU_CYCLE_1) | instskip(SKIP_1) | instid1(VALU_DEP_3)
	s_add_co_i32 s1, s1, 28
	v_cndmask_b32_e32 v1, 0, v0, vcc_lo
	v_add_nc_u64_e32 v[30:31], v[30:31], v[34:35]
	s_delay_alu instid0(VALU_DEP_2) | instskip(NEXT) | instid1(VALU_DEP_2)
	v_or_b32_e32 v1, v5, v1
	v_readfirstlane_b32 s14, v30
	s_delay_alu instid0(VALU_DEP_3) | instskip(NEXT) | instid1(VALU_DEP_3)
	v_readfirstlane_b32 s15, v31
	v_and_or_b32 v8, 0x1e0, s1, v1
	s_clause 0x3
	global_store_b128 v4, v[8:11], s[14:15]
	global_store_b128 v4, v[16:19], s[14:15] offset:16
	global_store_b128 v4, v[20:23], s[14:15] offset:32
	;; [unrolled: 1-line block ×3, first 2 shown]
	s_wait_xcnt 0x0
	s_and_saveexec_b32 s1, s0
	s_cbranch_execz .LBB4_303
; %bb.296:                              ;   in Loop: Header=BB4_238 Depth=1
	s_clause 0x1
	global_load_b64 v[20:21], v13, s[2:3] offset:32 scope:SCOPE_SYS
	global_load_b64 v[8:9], v13, s[2:3] offset:40
	s_mov_b32 s14, exec_lo
	v_dual_mov_b32 v18, s12 :: v_dual_mov_b32 v19, s13
	s_wait_loadcnt 0x0
	v_and_b32_e32 v9, s13, v9
	v_and_b32_e32 v8, s12, v8
	s_delay_alu instid0(VALU_DEP_1) | instskip(NEXT) | instid1(VALU_DEP_1)
	v_mul_u64_e32 v[8:9], 24, v[8:9]
	v_add_nc_u64_e32 v[16:17], v[28:29], v[8:9]
	global_store_b64 v[16:17], v[20:21], off
	global_wb scope:SCOPE_SYS
	s_wait_storecnt 0x0
	s_wait_xcnt 0x0
	global_atomic_cmpswap_b64 v[10:11], v13, v[18:21], s[2:3] offset:32 th:TH_ATOMIC_RETURN scope:SCOPE_SYS
	s_wait_loadcnt 0x0
	v_cmpx_ne_u64_e64 v[10:11], v[20:21]
	s_cbranch_execz .LBB4_299
; %bb.297:                              ;   in Loop: Header=BB4_238 Depth=1
	s_mov_b32 s15, 0
.LBB4_298:                              ;   Parent Loop BB4_238 Depth=1
                                        ; =>  This Inner Loop Header: Depth=2
	v_dual_mov_b32 v8, s12 :: v_dual_mov_b32 v9, s13
	s_sleep 1
	global_store_b64 v[16:17], v[10:11], off
	global_wb scope:SCOPE_SYS
	s_wait_storecnt 0x0
	s_wait_xcnt 0x0
	global_atomic_cmpswap_b64 v[8:9], v13, v[8:11], s[2:3] offset:32 th:TH_ATOMIC_RETURN scope:SCOPE_SYS
	s_wait_loadcnt 0x0
	v_cmp_eq_u64_e32 vcc_lo, v[8:9], v[10:11]
	v_mov_b64_e32 v[10:11], v[8:9]
	s_or_b32 s15, vcc_lo, s15
	s_delay_alu instid0(SALU_CYCLE_1)
	s_and_not1_b32 exec_lo, exec_lo, s15
	s_cbranch_execnz .LBB4_298
.LBB4_299:                              ;   in Loop: Header=BB4_238 Depth=1
	s_or_b32 exec_lo, exec_lo, s14
	global_load_b64 v[8:9], v13, s[2:3] offset:16
	s_mov_b32 s15, exec_lo
	s_mov_b32 s14, exec_lo
	v_mbcnt_lo_u32_b32 v1, s15, 0
	s_wait_xcnt 0x0
	s_delay_alu instid0(VALU_DEP_1)
	v_cmpx_eq_u32_e32 0, v1
	s_cbranch_execz .LBB4_301
; %bb.300:                              ;   in Loop: Header=BB4_238 Depth=1
	s_bcnt1_i32_b32 s15, s15
	s_delay_alu instid0(SALU_CYCLE_1)
	v_mov_b32_e32 v12, s15
	global_wb scope:SCOPE_SYS
	s_wait_loadcnt 0x0
	s_wait_storecnt 0x0
	global_atomic_add_u64 v[8:9], v[12:13], off offset:8 scope:SCOPE_SYS
.LBB4_301:                              ;   in Loop: Header=BB4_238 Depth=1
	s_wait_xcnt 0x0
	s_or_b32 exec_lo, exec_lo, s14
	s_wait_loadcnt 0x0
	global_load_b64 v[10:11], v[8:9], off offset:16
	s_wait_loadcnt 0x0
	v_cmp_eq_u64_e32 vcc_lo, 0, v[10:11]
	s_cbranch_vccnz .LBB4_303
; %bb.302:                              ;   in Loop: Header=BB4_238 Depth=1
	global_load_b32 v12, v[8:9], off offset:24
	s_wait_loadcnt 0x0
	v_readfirstlane_b32 s14, v12
	global_wb scope:SCOPE_SYS
	s_wait_storecnt 0x0
	s_wait_xcnt 0x0
	global_store_b64 v[10:11], v[12:13], off scope:SCOPE_SYS
	s_and_b32 m0, s14, 0xffffff
	s_sendmsg sendmsg(MSG_INTERRUPT)
.LBB4_303:                              ;   in Loop: Header=BB4_238 Depth=1
	s_wait_xcnt 0x0
	s_or_b32 exec_lo, exec_lo, s1
	v_mov_b32_e32 v5, v13
	s_delay_alu instid0(VALU_DEP_1)
	v_add_nc_u64_e32 v[8:9], v[30:31], v[4:5]
	s_branch .LBB4_307
.LBB4_304:                              ;   in Loop: Header=BB4_307 Depth=2
	s_wait_xcnt 0x0
	s_or_b32 exec_lo, exec_lo, s1
	s_delay_alu instid0(VALU_DEP_1)
	v_readfirstlane_b32 s1, v1
	s_cmp_eq_u32 s1, 0
	s_cbranch_scc1 .LBB4_306
; %bb.305:                              ;   in Loop: Header=BB4_307 Depth=2
	s_sleep 1
	s_cbranch_execnz .LBB4_307
	s_branch .LBB4_309
.LBB4_306:                              ;   in Loop: Header=BB4_238 Depth=1
	s_branch .LBB4_309
.LBB4_307:                              ;   Parent Loop BB4_238 Depth=1
                                        ; =>  This Inner Loop Header: Depth=2
	v_mov_b32_e32 v1, 1
	s_and_saveexec_b32 s1, s0
	s_cbranch_execz .LBB4_304
; %bb.308:                              ;   in Loop: Header=BB4_307 Depth=2
	global_load_b32 v1, v[32:33], off offset:20 scope:SCOPE_SYS
	s_wait_loadcnt 0x0
	global_inv scope:SCOPE_SYS
	v_and_b32_e32 v1, 1, v1
	s_branch .LBB4_304
.LBB4_309:                              ;   in Loop: Header=BB4_238 Depth=1
	global_load_b64 v[8:9], v[8:9], off
	s_wait_xcnt 0x0
	s_and_saveexec_b32 s14, s0
	s_cbranch_execz .LBB4_237
; %bb.310:                              ;   in Loop: Header=BB4_238 Depth=1
	s_clause 0x2
	global_load_b64 v[10:11], v13, s[2:3] offset:40
	global_load_b64 v[20:21], v13, s[2:3] offset:24 scope:SCOPE_SYS
	global_load_b64 v[16:17], v13, s[2:3]
	s_wait_loadcnt 0x2
	v_readfirstlane_b32 s16, v10
	v_readfirstlane_b32 s17, v11
	s_add_nc_u64 s[0:1], s[16:17], 1
	s_delay_alu instid0(SALU_CYCLE_1) | instskip(NEXT) | instid1(SALU_CYCLE_1)
	s_add_nc_u64 s[12:13], s[0:1], s[12:13]
	s_cmp_eq_u64 s[12:13], 0
	s_cselect_b32 s1, s1, s13
	s_cselect_b32 s0, s0, s12
	s_delay_alu instid0(SALU_CYCLE_1) | instskip(SKIP_1) | instid1(SALU_CYCLE_1)
	v_dual_mov_b32 v19, s1 :: v_dual_mov_b32 v18, s0
	s_and_b64 s[12:13], s[0:1], s[16:17]
	s_mul_u64 s[12:13], s[12:13], 24
	s_wait_loadcnt 0x0
	v_add_nc_u64_e32 v[10:11], s[12:13], v[16:17]
	global_store_b64 v[10:11], v[20:21], off
	global_wb scope:SCOPE_SYS
	s_wait_storecnt 0x0
	s_wait_xcnt 0x0
	global_atomic_cmpswap_b64 v[18:19], v13, v[18:21], s[2:3] offset:24 th:TH_ATOMIC_RETURN scope:SCOPE_SYS
	s_wait_loadcnt 0x0
	v_cmp_ne_u64_e32 vcc_lo, v[18:19], v[20:21]
	s_and_b32 exec_lo, exec_lo, vcc_lo
	s_cbranch_execz .LBB4_237
; %bb.311:                              ;   in Loop: Header=BB4_238 Depth=1
	s_mov_b32 s12, 0
.LBB4_312:                              ;   Parent Loop BB4_238 Depth=1
                                        ; =>  This Inner Loop Header: Depth=2
	v_dual_mov_b32 v16, s0 :: v_dual_mov_b32 v17, s1
	s_sleep 1
	global_store_b64 v[10:11], v[18:19], off
	global_wb scope:SCOPE_SYS
	s_wait_storecnt 0x0
	s_wait_xcnt 0x0
	global_atomic_cmpswap_b64 v[16:17], v13, v[16:19], s[2:3] offset:24 th:TH_ATOMIC_RETURN scope:SCOPE_SYS
	s_wait_loadcnt 0x0
	v_cmp_eq_u64_e32 vcc_lo, v[16:17], v[18:19]
	v_mov_b64_e32 v[18:19], v[16:17]
	s_or_b32 s12, vcc_lo, s12
	s_delay_alu instid0(SALU_CYCLE_1)
	s_and_not1_b32 exec_lo, exec_lo, s12
	s_cbranch_execnz .LBB4_312
	s_branch .LBB4_237
.LBB4_313:
	s_branch .LBB4_342
.LBB4_314:
                                        ; implicit-def: $vgpr8_vgpr9
	s_cbranch_execz .LBB4_342
; %bb.315:
	v_readfirstlane_b32 s0, v3
	v_mov_b64_e32 v[0:1], 0
	s_delay_alu instid0(VALU_DEP_2)
	v_cmp_eq_u32_e64 s0, s0, v3
	s_and_saveexec_b32 s1, s0
	s_cbranch_execz .LBB4_321
; %bb.316:
	v_mov_b32_e32 v5, 0
	s_mov_b32 s6, exec_lo
	global_load_b64 v[10:11], v5, s[2:3] offset:24 scope:SCOPE_SYS
	s_wait_loadcnt 0x0
	global_inv scope:SCOPE_SYS
	s_clause 0x1
	global_load_b64 v[0:1], v5, s[2:3] offset:40
	global_load_b64 v[8:9], v5, s[2:3]
	s_wait_loadcnt 0x1
	v_and_b32_e32 v0, v0, v10
	v_and_b32_e32 v1, v1, v11
	s_delay_alu instid0(VALU_DEP_1) | instskip(SKIP_1) | instid1(VALU_DEP_1)
	v_mul_u64_e32 v[0:1], 24, v[0:1]
	s_wait_loadcnt 0x0
	v_add_nc_u64_e32 v[0:1], v[8:9], v[0:1]
	global_load_b64 v[8:9], v[0:1], off scope:SCOPE_SYS
	s_wait_xcnt 0x0
	s_wait_loadcnt 0x0
	global_atomic_cmpswap_b64 v[0:1], v5, v[8:11], s[2:3] offset:24 th:TH_ATOMIC_RETURN scope:SCOPE_SYS
	s_wait_loadcnt 0x0
	global_inv scope:SCOPE_SYS
	s_wait_xcnt 0x0
	v_cmpx_ne_u64_e64 v[0:1], v[10:11]
	s_cbranch_execz .LBB4_320
; %bb.317:
	s_mov_b32 s7, 0
.LBB4_318:                              ; =>This Inner Loop Header: Depth=1
	s_sleep 1
	s_clause 0x1
	global_load_b64 v[8:9], v5, s[2:3] offset:40
	global_load_b64 v[12:13], v5, s[2:3]
	v_mov_b64_e32 v[10:11], v[0:1]
	s_wait_loadcnt 0x1
	s_delay_alu instid0(VALU_DEP_1) | instskip(NEXT) | instid1(VALU_DEP_2)
	v_and_b32_e32 v0, v8, v10
	v_and_b32_e32 v8, v9, v11
	s_wait_loadcnt 0x0
	s_delay_alu instid0(VALU_DEP_2) | instskip(NEXT) | instid1(VALU_DEP_1)
	v_mad_nc_u64_u32 v[0:1], v0, 24, v[12:13]
	v_mad_u32 v1, v8, 24, v1
	global_load_b64 v[8:9], v[0:1], off scope:SCOPE_SYS
	s_wait_xcnt 0x0
	s_wait_loadcnt 0x0
	global_atomic_cmpswap_b64 v[0:1], v5, v[8:11], s[2:3] offset:24 th:TH_ATOMIC_RETURN scope:SCOPE_SYS
	s_wait_loadcnt 0x0
	global_inv scope:SCOPE_SYS
	v_cmp_eq_u64_e32 vcc_lo, v[0:1], v[10:11]
	s_or_b32 s7, vcc_lo, s7
	s_wait_xcnt 0x0
	s_and_not1_b32 exec_lo, exec_lo, s7
	s_cbranch_execnz .LBB4_318
; %bb.319:
	s_or_b32 exec_lo, exec_lo, s7
.LBB4_320:
	s_delay_alu instid0(SALU_CYCLE_1)
	s_or_b32 exec_lo, exec_lo, s6
.LBB4_321:
	s_delay_alu instid0(SALU_CYCLE_1)
	s_or_b32 exec_lo, exec_lo, s1
	v_readfirstlane_b32 s6, v0
	v_mov_b32_e32 v5, 0
	v_readfirstlane_b32 s7, v1
	s_mov_b32 s1, exec_lo
	s_wait_loadcnt 0x0
	s_clause 0x1
	global_load_b64 v[8:9], v5, s[2:3] offset:40
	global_load_b128 v[10:13], v5, s[2:3]
	s_wait_loadcnt 0x1
	v_and_b32_e32 v8, s6, v8
	v_and_b32_e32 v9, s7, v9
	s_delay_alu instid0(VALU_DEP_1) | instskip(SKIP_1) | instid1(VALU_DEP_1)
	v_mul_u64_e32 v[0:1], 24, v[8:9]
	s_wait_loadcnt 0x0
	v_add_nc_u64_e32 v[0:1], v[10:11], v[0:1]
	s_wait_xcnt 0x0
	s_and_saveexec_b32 s8, s0
	s_cbranch_execz .LBB4_323
; %bb.322:
	v_mov_b64_e32 v[16:17], 0x100000002
	v_dual_mov_b32 v14, s1 :: v_dual_mov_b32 v15, v5
	global_store_b128 v[0:1], v[14:17], off offset:8
.LBB4_323:
	s_wait_xcnt 0x0
	s_or_b32 exec_lo, exec_lo, s8
	v_lshlrev_b64_e32 v[8:9], 12, v[8:9]
	s_mov_b32 s8, 0
	v_and_or_b32 v6, 0xffffff1f, v6, 32
	s_mov_b32 s10, s8
	s_mov_b32 s11, s8
	;; [unrolled: 1-line block ×3, first 2 shown]
	v_mov_b64_e32 v[16:17], s[10:11]
	v_add_nc_u64_e32 v[12:13], v[12:13], v[8:9]
	v_mov_b64_e32 v[14:15], s[8:9]
	v_dual_mov_b32 v8, v5 :: v_dual_mov_b32 v9, v5
	s_delay_alu instid0(VALU_DEP_3) | instskip(NEXT) | instid1(VALU_DEP_4)
	v_readfirstlane_b32 s12, v12
	v_readfirstlane_b32 s13, v13
	s_clause 0x3
	global_store_b128 v4, v[6:9], s[12:13]
	global_store_b128 v4, v[14:17], s[12:13] offset:16
	global_store_b128 v4, v[14:17], s[12:13] offset:32
	;; [unrolled: 1-line block ×3, first 2 shown]
	s_wait_xcnt 0x0
	s_and_saveexec_b32 s1, s0
	s_cbranch_execz .LBB4_331
; %bb.324:
	v_dual_mov_b32 v14, 0 :: v_dual_mov_b32 v17, s7
	s_mov_b32 s8, exec_lo
	s_clause 0x1
	global_load_b64 v[18:19], v14, s[2:3] offset:32 scope:SCOPE_SYS
	global_load_b64 v[6:7], v14, s[2:3] offset:40
	s_wait_loadcnt 0x0
	v_dual_mov_b32 v16, s6 :: v_dual_bitop2_b32 v7, s7, v7 bitop3:0x40
	v_and_b32_e32 v6, s6, v6
	s_delay_alu instid0(VALU_DEP_1) | instskip(NEXT) | instid1(VALU_DEP_1)
	v_mul_u64_e32 v[6:7], 24, v[6:7]
	v_add_nc_u64_e32 v[10:11], v[10:11], v[6:7]
	global_store_b64 v[10:11], v[18:19], off
	global_wb scope:SCOPE_SYS
	s_wait_storecnt 0x0
	s_wait_xcnt 0x0
	global_atomic_cmpswap_b64 v[8:9], v14, v[16:19], s[2:3] offset:32 th:TH_ATOMIC_RETURN scope:SCOPE_SYS
	s_wait_loadcnt 0x0
	v_cmpx_ne_u64_e64 v[8:9], v[18:19]
	s_cbranch_execz .LBB4_327
; %bb.325:
	s_mov_b32 s9, 0
.LBB4_326:                              ; =>This Inner Loop Header: Depth=1
	v_dual_mov_b32 v6, s6 :: v_dual_mov_b32 v7, s7
	s_sleep 1
	global_store_b64 v[10:11], v[8:9], off
	global_wb scope:SCOPE_SYS
	s_wait_storecnt 0x0
	s_wait_xcnt 0x0
	global_atomic_cmpswap_b64 v[6:7], v14, v[6:9], s[2:3] offset:32 th:TH_ATOMIC_RETURN scope:SCOPE_SYS
	s_wait_loadcnt 0x0
	v_cmp_eq_u64_e32 vcc_lo, v[6:7], v[8:9]
	v_mov_b64_e32 v[8:9], v[6:7]
	s_or_b32 s9, vcc_lo, s9
	s_delay_alu instid0(SALU_CYCLE_1)
	s_and_not1_b32 exec_lo, exec_lo, s9
	s_cbranch_execnz .LBB4_326
.LBB4_327:
	s_or_b32 exec_lo, exec_lo, s8
	v_mov_b32_e32 v9, 0
	s_mov_b32 s9, exec_lo
	s_mov_b32 s8, exec_lo
	v_mbcnt_lo_u32_b32 v8, s9, 0
	global_load_b64 v[6:7], v9, s[2:3] offset:16
	s_wait_xcnt 0x0
	v_cmpx_eq_u32_e32 0, v8
	s_cbranch_execz .LBB4_329
; %bb.328:
	s_bcnt1_i32_b32 s9, s9
	s_delay_alu instid0(SALU_CYCLE_1)
	v_mov_b32_e32 v8, s9
	global_wb scope:SCOPE_SYS
	s_wait_loadcnt 0x0
	s_wait_storecnt 0x0
	global_atomic_add_u64 v[6:7], v[8:9], off offset:8 scope:SCOPE_SYS
.LBB4_329:
	s_wait_xcnt 0x0
	s_or_b32 exec_lo, exec_lo, s8
	s_wait_loadcnt 0x0
	global_load_b64 v[8:9], v[6:7], off offset:16
	s_wait_loadcnt 0x0
	v_cmp_eq_u64_e32 vcc_lo, 0, v[8:9]
	s_cbranch_vccnz .LBB4_331
; %bb.330:
	global_load_b32 v6, v[6:7], off offset:24
	s_wait_xcnt 0x0
	v_mov_b32_e32 v7, 0
	s_wait_loadcnt 0x0
	v_readfirstlane_b32 s8, v6
	global_wb scope:SCOPE_SYS
	s_wait_storecnt 0x0
	global_store_b64 v[8:9], v[6:7], off scope:SCOPE_SYS
	s_and_b32 m0, s8, 0xffffff
	s_sendmsg sendmsg(MSG_INTERRUPT)
.LBB4_331:
	s_wait_xcnt 0x0
	s_or_b32 exec_lo, exec_lo, s1
	v_add_nc_u64_e32 v[6:7], v[12:13], v[4:5]
	s_branch .LBB4_335
.LBB4_332:                              ;   in Loop: Header=BB4_335 Depth=1
	s_wait_xcnt 0x0
	s_or_b32 exec_lo, exec_lo, s1
	s_delay_alu instid0(VALU_DEP_1)
	v_readfirstlane_b32 s1, v5
	s_cmp_eq_u32 s1, 0
	s_cbranch_scc1 .LBB4_334
; %bb.333:                              ;   in Loop: Header=BB4_335 Depth=1
	s_sleep 1
	s_cbranch_execnz .LBB4_335
	s_branch .LBB4_337
.LBB4_334:
	s_branch .LBB4_337
.LBB4_335:                              ; =>This Inner Loop Header: Depth=1
	v_mov_b32_e32 v5, 1
	s_and_saveexec_b32 s1, s0
	s_cbranch_execz .LBB4_332
; %bb.336:                              ;   in Loop: Header=BB4_335 Depth=1
	global_load_b32 v5, v[0:1], off offset:20 scope:SCOPE_SYS
	s_wait_loadcnt 0x0
	global_inv scope:SCOPE_SYS
	v_and_b32_e32 v5, 1, v5
	s_branch .LBB4_332
.LBB4_337:
	global_load_b64 v[8:9], v[6:7], off
	s_wait_xcnt 0x0
	s_and_saveexec_b32 s8, s0
	s_cbranch_execz .LBB4_341
; %bb.338:
	v_mov_b32_e32 v5, 0
	s_clause 0x2
	global_load_b64 v[0:1], v5, s[2:3] offset:40
	global_load_b64 v[14:15], v5, s[2:3] offset:24 scope:SCOPE_SYS
	global_load_b64 v[6:7], v5, s[2:3]
	s_wait_loadcnt 0x2
	v_readfirstlane_b32 s10, v0
	v_readfirstlane_b32 s11, v1
	s_add_nc_u64 s[0:1], s[10:11], 1
	s_delay_alu instid0(SALU_CYCLE_1) | instskip(NEXT) | instid1(SALU_CYCLE_1)
	s_add_nc_u64 s[6:7], s[0:1], s[6:7]
	s_cmp_eq_u64 s[6:7], 0
	s_cselect_b32 s1, s1, s7
	s_cselect_b32 s0, s0, s6
	v_mov_b32_e32 v13, s1
	s_and_b64 s[6:7], s[0:1], s[10:11]
	v_mov_b32_e32 v12, s0
	s_mul_u64 s[6:7], s[6:7], 24
	s_wait_loadcnt 0x0
	v_add_nc_u64_e32 v[0:1], s[6:7], v[6:7]
	global_store_b64 v[0:1], v[14:15], off
	global_wb scope:SCOPE_SYS
	s_wait_storecnt 0x0
	s_wait_xcnt 0x0
	global_atomic_cmpswap_b64 v[12:13], v5, v[12:15], s[2:3] offset:24 th:TH_ATOMIC_RETURN scope:SCOPE_SYS
	s_wait_loadcnt 0x0
	v_cmp_ne_u64_e32 vcc_lo, v[12:13], v[14:15]
	s_and_b32 exec_lo, exec_lo, vcc_lo
	s_cbranch_execz .LBB4_341
; %bb.339:
	s_mov_b32 s6, 0
.LBB4_340:                              ; =>This Inner Loop Header: Depth=1
	v_dual_mov_b32 v10, s0 :: v_dual_mov_b32 v11, s1
	s_sleep 1
	global_store_b64 v[0:1], v[12:13], off
	global_wb scope:SCOPE_SYS
	s_wait_storecnt 0x0
	s_wait_xcnt 0x0
	global_atomic_cmpswap_b64 v[6:7], v5, v[10:13], s[2:3] offset:24 th:TH_ATOMIC_RETURN scope:SCOPE_SYS
	s_wait_loadcnt 0x0
	v_cmp_eq_u64_e32 vcc_lo, v[6:7], v[12:13]
	v_mov_b64_e32 v[12:13], v[6:7]
	s_or_b32 s6, vcc_lo, s6
	s_delay_alu instid0(SALU_CYCLE_1)
	s_and_not1_b32 exec_lo, exec_lo, s6
	s_cbranch_execnz .LBB4_340
.LBB4_341:
	s_or_b32 exec_lo, exec_lo, s8
.LBB4_342:
	v_readfirstlane_b32 s0, v3
	v_mov_b64_e32 v[0:1], 0
	s_delay_alu instid0(VALU_DEP_2)
	v_cmp_eq_u32_e64 s0, s0, v3
	s_and_saveexec_b32 s1, s0
	s_cbranch_execz .LBB4_348
; %bb.343:
	v_mov_b32_e32 v5, 0
	s_mov_b32 s6, exec_lo
	global_load_b64 v[12:13], v5, s[2:3] offset:24 scope:SCOPE_SYS
	s_wait_loadcnt 0x0
	global_inv scope:SCOPE_SYS
	s_clause 0x1
	global_load_b64 v[0:1], v5, s[2:3] offset:40
	global_load_b64 v[6:7], v5, s[2:3]
	s_wait_loadcnt 0x1
	v_and_b32_e32 v0, v0, v12
	v_and_b32_e32 v1, v1, v13
	s_delay_alu instid0(VALU_DEP_1) | instskip(SKIP_1) | instid1(VALU_DEP_1)
	v_mul_u64_e32 v[0:1], 24, v[0:1]
	s_wait_loadcnt 0x0
	v_add_nc_u64_e32 v[0:1], v[6:7], v[0:1]
	global_load_b64 v[10:11], v[0:1], off scope:SCOPE_SYS
	s_wait_xcnt 0x0
	s_wait_loadcnt 0x0
	global_atomic_cmpswap_b64 v[0:1], v5, v[10:13], s[2:3] offset:24 th:TH_ATOMIC_RETURN scope:SCOPE_SYS
	s_wait_loadcnt 0x0
	global_inv scope:SCOPE_SYS
	s_wait_xcnt 0x0
	v_cmpx_ne_u64_e64 v[0:1], v[12:13]
	s_cbranch_execz .LBB4_347
; %bb.344:
	s_mov_b32 s7, 0
.LBB4_345:                              ; =>This Inner Loop Header: Depth=1
	s_sleep 1
	s_clause 0x1
	global_load_b64 v[6:7], v5, s[2:3] offset:40
	global_load_b64 v[10:11], v5, s[2:3]
	v_mov_b64_e32 v[12:13], v[0:1]
	s_wait_loadcnt 0x1
	s_delay_alu instid0(VALU_DEP_1) | instskip(NEXT) | instid1(VALU_DEP_2)
	v_and_b32_e32 v0, v6, v12
	v_and_b32_e32 v6, v7, v13
	s_wait_loadcnt 0x0
	s_delay_alu instid0(VALU_DEP_2) | instskip(NEXT) | instid1(VALU_DEP_1)
	v_mad_nc_u64_u32 v[0:1], v0, 24, v[10:11]
	v_mad_u32 v1, v6, 24, v1
	global_load_b64 v[10:11], v[0:1], off scope:SCOPE_SYS
	s_wait_xcnt 0x0
	s_wait_loadcnt 0x0
	global_atomic_cmpswap_b64 v[0:1], v5, v[10:13], s[2:3] offset:24 th:TH_ATOMIC_RETURN scope:SCOPE_SYS
	s_wait_loadcnt 0x0
	global_inv scope:SCOPE_SYS
	v_cmp_eq_u64_e32 vcc_lo, v[0:1], v[12:13]
	s_or_b32 s7, vcc_lo, s7
	s_wait_xcnt 0x0
	s_and_not1_b32 exec_lo, exec_lo, s7
	s_cbranch_execnz .LBB4_345
; %bb.346:
	s_or_b32 exec_lo, exec_lo, s7
.LBB4_347:
	s_delay_alu instid0(SALU_CYCLE_1)
	s_or_b32 exec_lo, exec_lo, s6
.LBB4_348:
	s_delay_alu instid0(SALU_CYCLE_1)
	s_or_b32 exec_lo, exec_lo, s1
	v_readfirstlane_b32 s6, v0
	v_mov_b32_e32 v5, 0
	v_readfirstlane_b32 s7, v1
	s_mov_b32 s1, exec_lo
	s_wait_loadcnt 0x0
	s_clause 0x1
	global_load_b64 v[6:7], v5, s[2:3] offset:40
	global_load_b128 v[12:15], v5, s[2:3]
	s_wait_loadcnt 0x1
	v_and_b32_e32 v6, s6, v6
	v_and_b32_e32 v7, s7, v7
	s_delay_alu instid0(VALU_DEP_1) | instskip(SKIP_1) | instid1(VALU_DEP_1)
	v_mul_u64_e32 v[0:1], 24, v[6:7]
	s_wait_loadcnt 0x0
	v_add_nc_u64_e32 v[0:1], v[12:13], v[0:1]
	s_wait_xcnt 0x0
	s_and_saveexec_b32 s8, s0
	s_cbranch_execz .LBB4_350
; %bb.349:
	v_mov_b64_e32 v[18:19], 0x100000002
	v_dual_mov_b32 v16, s1 :: v_dual_mov_b32 v17, v5
	global_store_b128 v[0:1], v[16:19], off offset:8
.LBB4_350:
	s_wait_xcnt 0x0
	s_or_b32 exec_lo, exec_lo, s8
	v_lshlrev_b64_e32 v[6:7], 12, v[6:7]
	s_mov_b32 s8, 0
	v_and_or_b32 v8, 0xffffff1f, v8, 32
	s_mov_b32 s10, s8
	s_mov_b32 s11, s8
	;; [unrolled: 1-line block ×3, first 2 shown]
	v_mov_b64_e32 v[18:19], s[10:11]
	v_add_nc_u64_e32 v[14:15], v[14:15], v[6:7]
	v_mov_b64_e32 v[16:17], s[8:9]
	v_dual_mov_b32 v10, 31 :: v_dual_mov_b32 v11, v5
	s_delay_alu instid0(VALU_DEP_3) | instskip(NEXT) | instid1(VALU_DEP_4)
	v_readfirstlane_b32 s12, v14
	v_readfirstlane_b32 s13, v15
	s_clause 0x3
	global_store_b128 v4, v[8:11], s[12:13]
	global_store_b128 v4, v[16:19], s[12:13] offset:16
	global_store_b128 v4, v[16:19], s[12:13] offset:32
	;; [unrolled: 1-line block ×3, first 2 shown]
	s_wait_xcnt 0x0
	s_and_saveexec_b32 s1, s0
	s_cbranch_execz .LBB4_358
; %bb.351:
	v_dual_mov_b32 v16, 0 :: v_dual_mov_b32 v19, s7
	s_mov_b32 s8, exec_lo
	s_clause 0x1
	global_load_b64 v[20:21], v16, s[2:3] offset:32 scope:SCOPE_SYS
	global_load_b64 v[6:7], v16, s[2:3] offset:40
	s_wait_loadcnt 0x0
	v_dual_mov_b32 v18, s6 :: v_dual_bitop2_b32 v7, s7, v7 bitop3:0x40
	v_and_b32_e32 v6, s6, v6
	s_delay_alu instid0(VALU_DEP_1) | instskip(NEXT) | instid1(VALU_DEP_1)
	v_mul_u64_e32 v[6:7], 24, v[6:7]
	v_add_nc_u64_e32 v[10:11], v[12:13], v[6:7]
	global_store_b64 v[10:11], v[20:21], off
	global_wb scope:SCOPE_SYS
	s_wait_storecnt 0x0
	s_wait_xcnt 0x0
	global_atomic_cmpswap_b64 v[8:9], v16, v[18:21], s[2:3] offset:32 th:TH_ATOMIC_RETURN scope:SCOPE_SYS
	s_wait_loadcnt 0x0
	v_cmpx_ne_u64_e64 v[8:9], v[20:21]
	s_cbranch_execz .LBB4_354
; %bb.352:
	s_mov_b32 s9, 0
.LBB4_353:                              ; =>This Inner Loop Header: Depth=1
	v_dual_mov_b32 v6, s6 :: v_dual_mov_b32 v7, s7
	s_sleep 1
	global_store_b64 v[10:11], v[8:9], off
	global_wb scope:SCOPE_SYS
	s_wait_storecnt 0x0
	s_wait_xcnt 0x0
	global_atomic_cmpswap_b64 v[6:7], v16, v[6:9], s[2:3] offset:32 th:TH_ATOMIC_RETURN scope:SCOPE_SYS
	s_wait_loadcnt 0x0
	v_cmp_eq_u64_e32 vcc_lo, v[6:7], v[8:9]
	v_mov_b64_e32 v[8:9], v[6:7]
	s_or_b32 s9, vcc_lo, s9
	s_delay_alu instid0(SALU_CYCLE_1)
	s_and_not1_b32 exec_lo, exec_lo, s9
	s_cbranch_execnz .LBB4_353
.LBB4_354:
	s_or_b32 exec_lo, exec_lo, s8
	v_mov_b32_e32 v9, 0
	s_mov_b32 s9, exec_lo
	s_mov_b32 s8, exec_lo
	v_mbcnt_lo_u32_b32 v8, s9, 0
	global_load_b64 v[6:7], v9, s[2:3] offset:16
	s_wait_xcnt 0x0
	v_cmpx_eq_u32_e32 0, v8
	s_cbranch_execz .LBB4_356
; %bb.355:
	s_bcnt1_i32_b32 s9, s9
	s_delay_alu instid0(SALU_CYCLE_1)
	v_mov_b32_e32 v8, s9
	global_wb scope:SCOPE_SYS
	s_wait_loadcnt 0x0
	s_wait_storecnt 0x0
	global_atomic_add_u64 v[6:7], v[8:9], off offset:8 scope:SCOPE_SYS
.LBB4_356:
	s_wait_xcnt 0x0
	s_or_b32 exec_lo, exec_lo, s8
	s_wait_loadcnt 0x0
	global_load_b64 v[8:9], v[6:7], off offset:16
	s_wait_loadcnt 0x0
	v_cmp_eq_u64_e32 vcc_lo, 0, v[8:9]
	s_cbranch_vccnz .LBB4_358
; %bb.357:
	global_load_b32 v6, v[6:7], off offset:24
	s_wait_xcnt 0x0
	v_mov_b32_e32 v7, 0
	s_wait_loadcnt 0x0
	v_readfirstlane_b32 s8, v6
	global_wb scope:SCOPE_SYS
	s_wait_storecnt 0x0
	global_store_b64 v[8:9], v[6:7], off scope:SCOPE_SYS
	s_and_b32 m0, s8, 0xffffff
	s_sendmsg sendmsg(MSG_INTERRUPT)
.LBB4_358:
	s_wait_xcnt 0x0
	s_or_b32 exec_lo, exec_lo, s1
	v_add_nc_u64_e32 v[6:7], v[14:15], v[4:5]
	s_branch .LBB4_362
.LBB4_359:                              ;   in Loop: Header=BB4_362 Depth=1
	s_wait_xcnt 0x0
	s_or_b32 exec_lo, exec_lo, s1
	s_delay_alu instid0(VALU_DEP_1)
	v_readfirstlane_b32 s1, v5
	s_cmp_eq_u32 s1, 0
	s_cbranch_scc1 .LBB4_361
; %bb.360:                              ;   in Loop: Header=BB4_362 Depth=1
	s_sleep 1
	s_cbranch_execnz .LBB4_362
	s_branch .LBB4_364
.LBB4_361:
	s_branch .LBB4_364
.LBB4_362:                              ; =>This Inner Loop Header: Depth=1
	v_mov_b32_e32 v5, 1
	s_and_saveexec_b32 s1, s0
	s_cbranch_execz .LBB4_359
; %bb.363:                              ;   in Loop: Header=BB4_362 Depth=1
	global_load_b32 v5, v[0:1], off offset:20 scope:SCOPE_SYS
	s_wait_loadcnt 0x0
	global_inv scope:SCOPE_SYS
	v_and_b32_e32 v5, 1, v5
	s_branch .LBB4_359
.LBB4_364:
	global_load_b64 v[0:1], v[6:7], off
	s_wait_xcnt 0x0
	s_and_saveexec_b32 s8, s0
	s_cbranch_execz .LBB4_368
; %bb.365:
	v_mov_b32_e32 v5, 0
	s_clause 0x2
	global_load_b64 v[6:7], v5, s[2:3] offset:40
	global_load_b64 v[14:15], v5, s[2:3] offset:24 scope:SCOPE_SYS
	global_load_b64 v[8:9], v5, s[2:3]
	s_wait_loadcnt 0x2
	v_readfirstlane_b32 s10, v6
	v_readfirstlane_b32 s11, v7
	s_add_nc_u64 s[0:1], s[10:11], 1
	s_delay_alu instid0(SALU_CYCLE_1) | instskip(NEXT) | instid1(SALU_CYCLE_1)
	s_add_nc_u64 s[6:7], s[0:1], s[6:7]
	s_cmp_eq_u64 s[6:7], 0
	s_cselect_b32 s1, s1, s7
	s_cselect_b32 s0, s0, s6
	v_mov_b32_e32 v13, s1
	s_and_b64 s[6:7], s[0:1], s[10:11]
	v_mov_b32_e32 v12, s0
	s_mul_u64 s[6:7], s[6:7], 24
	s_wait_loadcnt 0x0
	v_add_nc_u64_e32 v[10:11], s[6:7], v[8:9]
	global_store_b64 v[10:11], v[14:15], off
	global_wb scope:SCOPE_SYS
	s_wait_storecnt 0x0
	s_wait_xcnt 0x0
	global_atomic_cmpswap_b64 v[8:9], v5, v[12:15], s[2:3] offset:24 th:TH_ATOMIC_RETURN scope:SCOPE_SYS
	s_wait_loadcnt 0x0
	v_cmp_ne_u64_e32 vcc_lo, v[8:9], v[14:15]
	s_and_b32 exec_lo, exec_lo, vcc_lo
	s_cbranch_execz .LBB4_368
; %bb.366:
	s_mov_b32 s6, 0
.LBB4_367:                              ; =>This Inner Loop Header: Depth=1
	v_dual_mov_b32 v6, s0 :: v_dual_mov_b32 v7, s1
	s_sleep 1
	global_store_b64 v[10:11], v[8:9], off
	global_wb scope:SCOPE_SYS
	s_wait_storecnt 0x0
	s_wait_xcnt 0x0
	global_atomic_cmpswap_b64 v[6:7], v5, v[6:9], s[2:3] offset:24 th:TH_ATOMIC_RETURN scope:SCOPE_SYS
	s_wait_loadcnt 0x0
	v_cmp_eq_u64_e32 vcc_lo, v[6:7], v[8:9]
	v_mov_b64_e32 v[8:9], v[6:7]
	s_or_b32 s6, vcc_lo, s6
	s_delay_alu instid0(SALU_CYCLE_1)
	s_and_not1_b32 exec_lo, exec_lo, s6
	s_cbranch_execnz .LBB4_367
.LBB4_368:
	s_or_b32 exec_lo, exec_lo, s8
	v_readfirstlane_b32 s0, v3
	v_mov_b64_e32 v[10:11], 0
	s_delay_alu instid0(VALU_DEP_2)
	v_cmp_eq_u32_e64 s0, s0, v3
	s_and_saveexec_b32 s1, s0
	s_cbranch_execz .LBB4_374
; %bb.369:
	v_mov_b32_e32 v3, 0
	s_mov_b32 s6, exec_lo
	global_load_b64 v[8:9], v3, s[2:3] offset:24 scope:SCOPE_SYS
	s_wait_loadcnt 0x0
	global_inv scope:SCOPE_SYS
	s_clause 0x1
	global_load_b64 v[6:7], v3, s[2:3] offset:40
	global_load_b64 v[10:11], v3, s[2:3]
	s_wait_loadcnt 0x1
	v_and_b32_e32 v6, v6, v8
	v_and_b32_e32 v7, v7, v9
	s_delay_alu instid0(VALU_DEP_1) | instskip(SKIP_1) | instid1(VALU_DEP_1)
	v_mul_u64_e32 v[6:7], 24, v[6:7]
	s_wait_loadcnt 0x0
	v_add_nc_u64_e32 v[6:7], v[10:11], v[6:7]
	global_load_b64 v[6:7], v[6:7], off scope:SCOPE_SYS
	s_wait_xcnt 0x0
	s_wait_loadcnt 0x0
	global_atomic_cmpswap_b64 v[10:11], v3, v[6:9], s[2:3] offset:24 th:TH_ATOMIC_RETURN scope:SCOPE_SYS
	s_wait_loadcnt 0x0
	global_inv scope:SCOPE_SYS
	s_wait_xcnt 0x0
	v_cmpx_ne_u64_e64 v[10:11], v[8:9]
	s_cbranch_execz .LBB4_373
; %bb.370:
	s_mov_b32 s7, 0
.LBB4_371:                              ; =>This Inner Loop Header: Depth=1
	s_sleep 1
	s_clause 0x1
	global_load_b64 v[6:7], v3, s[2:3] offset:40
	global_load_b64 v[12:13], v3, s[2:3]
	v_mov_b64_e32 v[8:9], v[10:11]
	s_wait_loadcnt 0x1
	s_delay_alu instid0(VALU_DEP_1) | instskip(SKIP_1) | instid1(VALU_DEP_1)
	v_and_b32_e32 v5, v6, v8
	s_wait_loadcnt 0x0
	v_mad_nc_u64_u32 v[10:11], v5, 24, v[12:13]
	s_delay_alu instid0(VALU_DEP_3) | instskip(NEXT) | instid1(VALU_DEP_1)
	v_and_b32_e32 v5, v7, v9
	v_mad_u32 v11, v5, 24, v11
	global_load_b64 v[6:7], v[10:11], off scope:SCOPE_SYS
	s_wait_xcnt 0x0
	s_wait_loadcnt 0x0
	global_atomic_cmpswap_b64 v[10:11], v3, v[6:9], s[2:3] offset:24 th:TH_ATOMIC_RETURN scope:SCOPE_SYS
	s_wait_loadcnt 0x0
	global_inv scope:SCOPE_SYS
	v_cmp_eq_u64_e32 vcc_lo, v[10:11], v[8:9]
	s_or_b32 s7, vcc_lo, s7
	s_wait_xcnt 0x0
	s_and_not1_b32 exec_lo, exec_lo, s7
	s_cbranch_execnz .LBB4_371
; %bb.372:
	s_or_b32 exec_lo, exec_lo, s7
.LBB4_373:
	s_delay_alu instid0(SALU_CYCLE_1)
	s_or_b32 exec_lo, exec_lo, s6
.LBB4_374:
	s_delay_alu instid0(SALU_CYCLE_1)
	s_or_b32 exec_lo, exec_lo, s1
	v_readfirstlane_b32 s6, v10
	v_mov_b32_e32 v3, 0
	v_readfirstlane_b32 s7, v11
	s_mov_b32 s1, exec_lo
	s_clause 0x1
	global_load_b64 v[12:13], v3, s[2:3] offset:40
	global_load_b128 v[6:9], v3, s[2:3]
	s_wait_loadcnt 0x1
	v_and_b32_e32 v12, s6, v12
	v_and_b32_e32 v13, s7, v13
	s_delay_alu instid0(VALU_DEP_1) | instskip(SKIP_1) | instid1(VALU_DEP_1)
	v_mul_u64_e32 v[10:11], 24, v[12:13]
	s_wait_loadcnt 0x0
	v_add_nc_u64_e32 v[10:11], v[6:7], v[10:11]
	s_wait_xcnt 0x0
	s_and_saveexec_b32 s8, s0
	s_cbranch_execz .LBB4_376
; %bb.375:
	v_mov_b64_e32 v[16:17], 0x100000002
	v_dual_mov_b32 v14, s1 :: v_dual_mov_b32 v15, v3
	global_store_b128 v[10:11], v[14:17], off offset:8
.LBB4_376:
	s_wait_xcnt 0x0
	s_or_b32 exec_lo, exec_lo, s8
	v_lshlrev_b64_e32 v[12:13], 12, v[12:13]
	s_mov_b32 s8, 0
	v_and_or_b32 v0, 0xffffff1d, v0, 34
	s_mov_b32 s10, s8
	s_mov_b32 s11, s8
	;; [unrolled: 1-line block ×3, first 2 shown]
	s_delay_alu instid0(VALU_DEP_2) | instskip(SKIP_2) | instid1(VALU_DEP_3)
	v_add_nc_u64_e32 v[8:9], v[8:9], v[12:13]
	v_mov_b64_e32 v[14:15], s[10:11]
	v_mov_b64_e32 v[12:13], s[8:9]
	v_readfirstlane_b32 s12, v8
	s_delay_alu instid0(VALU_DEP_4)
	v_readfirstlane_b32 s13, v9
	s_wait_dscnt 0x0
	s_clause 0x3
	global_store_b128 v4, v[0:3], s[12:13]
	global_store_b128 v4, v[12:15], s[12:13] offset:16
	global_store_b128 v4, v[12:15], s[12:13] offset:32
	;; [unrolled: 1-line block ×3, first 2 shown]
	s_wait_xcnt 0x0
	s_and_saveexec_b32 s1, s0
	s_cbranch_execz .LBB4_384
; %bb.377:
	v_mov_b32_e32 v3, 0
	s_mov_b32 s8, exec_lo
	s_clause 0x1
	global_load_b64 v[8:9], v3, s[2:3] offset:32 scope:SCOPE_SYS
	global_load_b64 v[0:1], v3, s[2:3] offset:40
	s_wait_loadcnt 0x0
	v_and_b32_e32 v0, s6, v0
	v_and_b32_e32 v1, s7, v1
	s_delay_alu instid0(VALU_DEP_1) | instskip(NEXT) | instid1(VALU_DEP_1)
	v_mul_u64_e32 v[0:1], 24, v[0:1]
	v_add_nc_u64_e32 v[0:1], v[6:7], v[0:1]
	v_dual_mov_b32 v6, s6 :: v_dual_mov_b32 v7, s7
	global_store_b64 v[0:1], v[8:9], off
	global_wb scope:SCOPE_SYS
	s_wait_storecnt 0x0
	s_wait_xcnt 0x0
	global_atomic_cmpswap_b64 v[6:7], v3, v[6:9], s[2:3] offset:32 th:TH_ATOMIC_RETURN scope:SCOPE_SYS
	s_wait_loadcnt 0x0
	v_cmpx_ne_u64_e64 v[6:7], v[8:9]
	s_cbranch_execz .LBB4_380
; %bb.378:
	s_mov_b32 s9, 0
.LBB4_379:                              ; =>This Inner Loop Header: Depth=1
	v_dual_mov_b32 v4, s6 :: v_dual_mov_b32 v5, s7
	s_sleep 1
	global_store_b64 v[0:1], v[6:7], off
	global_wb scope:SCOPE_SYS
	s_wait_storecnt 0x0
	s_wait_xcnt 0x0
	global_atomic_cmpswap_b64 v[4:5], v3, v[4:7], s[2:3] offset:32 th:TH_ATOMIC_RETURN scope:SCOPE_SYS
	s_wait_loadcnt 0x0
	v_cmp_eq_u64_e32 vcc_lo, v[4:5], v[6:7]
	v_mov_b64_e32 v[6:7], v[4:5]
	s_or_b32 s9, vcc_lo, s9
	s_delay_alu instid0(SALU_CYCLE_1)
	s_and_not1_b32 exec_lo, exec_lo, s9
	s_cbranch_execnz .LBB4_379
.LBB4_380:
	s_or_b32 exec_lo, exec_lo, s8
	v_mov_b32_e32 v5, 0
	s_mov_b32 s9, exec_lo
	s_mov_b32 s8, exec_lo
	v_mbcnt_lo_u32_b32 v3, s9, 0
	global_load_b64 v[0:1], v5, s[2:3] offset:16
	s_wait_xcnt 0x0
	v_cmpx_eq_u32_e32 0, v3
	s_cbranch_execz .LBB4_382
; %bb.381:
	s_bcnt1_i32_b32 s9, s9
	s_delay_alu instid0(SALU_CYCLE_1)
	v_mov_b32_e32 v4, s9
	global_wb scope:SCOPE_SYS
	s_wait_loadcnt 0x0
	s_wait_storecnt 0x0
	global_atomic_add_u64 v[0:1], v[4:5], off offset:8 scope:SCOPE_SYS
.LBB4_382:
	s_wait_xcnt 0x0
	s_or_b32 exec_lo, exec_lo, s8
	s_wait_loadcnt 0x0
	global_load_b64 v[4:5], v[0:1], off offset:16
	s_wait_loadcnt 0x0
	v_cmp_eq_u64_e32 vcc_lo, 0, v[4:5]
	s_cbranch_vccnz .LBB4_384
; %bb.383:
	global_load_b32 v0, v[0:1], off offset:24
	s_wait_xcnt 0x0
	v_mov_b32_e32 v1, 0
	s_wait_loadcnt 0x0
	v_readfirstlane_b32 s8, v0
	global_wb scope:SCOPE_SYS
	s_wait_storecnt 0x0
	global_store_b64 v[4:5], v[0:1], off scope:SCOPE_SYS
	s_and_b32 m0, s8, 0xffffff
	s_sendmsg sendmsg(MSG_INTERRUPT)
.LBB4_384:
	s_wait_xcnt 0x0
	s_or_b32 exec_lo, exec_lo, s1
	s_branch .LBB4_388
.LBB4_385:                              ;   in Loop: Header=BB4_388 Depth=1
	s_wait_xcnt 0x0
	s_or_b32 exec_lo, exec_lo, s1
	s_delay_alu instid0(VALU_DEP_1)
	v_readfirstlane_b32 s1, v0
	s_cmp_eq_u32 s1, 0
	s_cbranch_scc1 .LBB4_387
; %bb.386:                              ;   in Loop: Header=BB4_388 Depth=1
	s_sleep 1
	s_cbranch_execnz .LBB4_388
	s_branch .LBB4_390
.LBB4_387:
	s_branch .LBB4_390
.LBB4_388:                              ; =>This Inner Loop Header: Depth=1
	v_mov_b32_e32 v0, 1
	s_and_saveexec_b32 s1, s0
	s_cbranch_execz .LBB4_385
; %bb.389:                              ;   in Loop: Header=BB4_388 Depth=1
	global_load_b32 v0, v[10:11], off offset:20 scope:SCOPE_SYS
	s_wait_loadcnt 0x0
	global_inv scope:SCOPE_SYS
	v_and_b32_e32 v0, 1, v0
	s_branch .LBB4_385
.LBB4_390:
	s_and_saveexec_b32 s8, s0
	s_cbranch_execz .LBB4_394
; %bb.391:
	v_mov_b32_e32 v3, 0
	s_clause 0x2
	global_load_b64 v[0:1], v3, s[2:3] offset:40
	global_load_b64 v[8:9], v3, s[2:3] offset:24 scope:SCOPE_SYS
	global_load_b64 v[4:5], v3, s[2:3]
	s_wait_loadcnt 0x2
	v_readfirstlane_b32 s10, v0
	v_readfirstlane_b32 s11, v1
	s_add_nc_u64 s[0:1], s[10:11], 1
	s_delay_alu instid0(SALU_CYCLE_1) | instskip(NEXT) | instid1(SALU_CYCLE_1)
	s_add_nc_u64 s[6:7], s[0:1], s[6:7]
	s_cmp_eq_u64 s[6:7], 0
	s_cselect_b32 s1, s1, s7
	s_cselect_b32 s0, s0, s6
	v_mov_b32_e32 v7, s1
	s_and_b64 s[6:7], s[0:1], s[10:11]
	v_mov_b32_e32 v6, s0
	s_mul_u64 s[6:7], s[6:7], 24
	s_wait_loadcnt 0x0
	v_add_nc_u64_e32 v[0:1], s[6:7], v[4:5]
	global_store_b64 v[0:1], v[8:9], off
	global_wb scope:SCOPE_SYS
	s_wait_storecnt 0x0
	s_wait_xcnt 0x0
	global_atomic_cmpswap_b64 v[6:7], v3, v[6:9], s[2:3] offset:24 th:TH_ATOMIC_RETURN scope:SCOPE_SYS
	s_wait_loadcnt 0x0
	v_cmp_ne_u64_e32 vcc_lo, v[6:7], v[8:9]
	s_and_b32 exec_lo, exec_lo, vcc_lo
	s_cbranch_execz .LBB4_394
; %bb.392:
	s_mov_b32 s6, 0
.LBB4_393:                              ; =>This Inner Loop Header: Depth=1
	v_dual_mov_b32 v4, s0 :: v_dual_mov_b32 v5, s1
	s_sleep 1
	global_store_b64 v[0:1], v[6:7], off
	global_wb scope:SCOPE_SYS
	s_wait_storecnt 0x0
	s_wait_xcnt 0x0
	global_atomic_cmpswap_b64 v[4:5], v3, v[4:7], s[2:3] offset:24 th:TH_ATOMIC_RETURN scope:SCOPE_SYS
	s_wait_loadcnt 0x0
	v_cmp_eq_u64_e32 vcc_lo, v[4:5], v[6:7]
	v_mov_b64_e32 v[6:7], v[4:5]
	s_or_b32 s6, vcc_lo, s6
	s_delay_alu instid0(SALU_CYCLE_1)
	s_and_not1_b32 exec_lo, exec_lo, s6
	s_cbranch_execnz .LBB4_393
.LBB4_394:
	s_or_b32 exec_lo, exec_lo, s8
	v_lshrrev_b32_e32 v0, 3, v36
	s_delay_alu instid0(VALU_DEP_1)
	v_and_b32_e32 v0, 0x1ffffffc, v0
	global_store_b32 v0, v2, s[4:5]
.LBB4_395:
	s_endpgm
.LBB4_396:
	s_cbranch_execz .LBB4_202
	s_branch .LBB4_203
	.section	.rodata,"a",@progbits
	.p2align	6, 0x0
	.amdhsa_kernel _ZL32kernel_cg_group_partition_staticILj32EEvPi19TiledGroupShflTests
		.amdhsa_group_segment_fixed_size 0
		.amdhsa_private_segment_fixed_size 12
		.amdhsa_kernarg_size 272
		.amdhsa_user_sgpr_count 2
		.amdhsa_user_sgpr_dispatch_ptr 0
		.amdhsa_user_sgpr_queue_ptr 0
		.amdhsa_user_sgpr_kernarg_segment_ptr 1
		.amdhsa_user_sgpr_dispatch_id 0
		.amdhsa_user_sgpr_kernarg_preload_length 0
		.amdhsa_user_sgpr_kernarg_preload_offset 0
		.amdhsa_user_sgpr_private_segment_size 0
		.amdhsa_wavefront_size32 1
		.amdhsa_uses_dynamic_stack 0
		.amdhsa_enable_private_segment 1
		.amdhsa_system_sgpr_workgroup_id_x 1
		.amdhsa_system_sgpr_workgroup_id_y 0
		.amdhsa_system_sgpr_workgroup_id_z 0
		.amdhsa_system_sgpr_workgroup_info 0
		.amdhsa_system_vgpr_workitem_id 2
		.amdhsa_next_free_vgpr 37
		.amdhsa_next_free_sgpr 26
		.amdhsa_named_barrier_count 0
		.amdhsa_reserve_vcc 1
		.amdhsa_float_round_mode_32 0
		.amdhsa_float_round_mode_16_64 0
		.amdhsa_float_denorm_mode_32 3
		.amdhsa_float_denorm_mode_16_64 3
		.amdhsa_fp16_overflow 0
		.amdhsa_memory_ordered 1
		.amdhsa_forward_progress 1
		.amdhsa_inst_pref_size 141
		.amdhsa_round_robin_scheduling 0
		.amdhsa_exception_fp_ieee_invalid_op 0
		.amdhsa_exception_fp_denorm_src 0
		.amdhsa_exception_fp_ieee_div_zero 0
		.amdhsa_exception_fp_ieee_overflow 0
		.amdhsa_exception_fp_ieee_underflow 0
		.amdhsa_exception_fp_ieee_inexact 0
		.amdhsa_exception_int_div_zero 0
	.end_amdhsa_kernel
	.section	.text._ZL32kernel_cg_group_partition_staticILj32EEvPi19TiledGroupShflTests,"axG",@progbits,_ZL32kernel_cg_group_partition_staticILj32EEvPi19TiledGroupShflTests,comdat
.Lfunc_end4:
	.size	_ZL32kernel_cg_group_partition_staticILj32EEvPi19TiledGroupShflTests, .Lfunc_end4-_ZL32kernel_cg_group_partition_staticILj32EEvPi19TiledGroupShflTests
                                        ; -- End function
	.set _ZL32kernel_cg_group_partition_staticILj32EEvPi19TiledGroupShflTests.num_vgpr, 37
	.set _ZL32kernel_cg_group_partition_staticILj32EEvPi19TiledGroupShflTests.num_agpr, 0
	.set _ZL32kernel_cg_group_partition_staticILj32EEvPi19TiledGroupShflTests.numbered_sgpr, 26
	.set _ZL32kernel_cg_group_partition_staticILj32EEvPi19TiledGroupShflTests.num_named_barrier, 0
	.set _ZL32kernel_cg_group_partition_staticILj32EEvPi19TiledGroupShflTests.private_seg_size, 12
	.set _ZL32kernel_cg_group_partition_staticILj32EEvPi19TiledGroupShflTests.uses_vcc, 1
	.set _ZL32kernel_cg_group_partition_staticILj32EEvPi19TiledGroupShflTests.uses_flat_scratch, 0
	.set _ZL32kernel_cg_group_partition_staticILj32EEvPi19TiledGroupShflTests.has_dyn_sized_stack, 0
	.set _ZL32kernel_cg_group_partition_staticILj32EEvPi19TiledGroupShflTests.has_recursion, 0
	.set _ZL32kernel_cg_group_partition_staticILj32EEvPi19TiledGroupShflTests.has_indirect_call, 0
	.section	.AMDGPU.csdata,"",@progbits
; Kernel info:
; codeLenInByte = 17960
; TotalNumSgprs: 28
; NumVgprs: 37
; ScratchSize: 12
; MemoryBound: 0
; FloatMode: 240
; IeeeMode: 1
; LDSByteSize: 0 bytes/workgroup (compile time only)
; SGPRBlocks: 0
; VGPRBlocks: 2
; NumSGPRsForWavesPerEU: 28
; NumVGPRsForWavesPerEU: 37
; NamedBarCnt: 0
; Occupancy: 16
; WaveLimiterHint : 1
; COMPUTE_PGM_RSRC2:SCRATCH_EN: 1
; COMPUTE_PGM_RSRC2:USER_SGPR: 2
; COMPUTE_PGM_RSRC2:TRAP_HANDLER: 0
; COMPUTE_PGM_RSRC2:TGID_X_EN: 1
; COMPUTE_PGM_RSRC2:TGID_Y_EN: 0
; COMPUTE_PGM_RSRC2:TGID_Z_EN: 0
; COMPUTE_PGM_RSRC2:TIDIG_COMP_CNT: 2
	.section	.AMDGPU.gpr_maximums,"",@progbits
	.set amdgpu.max_num_vgpr, 0
	.set amdgpu.max_num_agpr, 0
	.set amdgpu.max_num_sgpr, 0
	.section	.AMDGPU.csdata,"",@progbits
	.type	.str,@object                    ; @.str
	.section	.rodata.str1.1,"aMS",@progbits,1
.str:
	.asciz	" Creating %d groups, of tile size %d threads:\n\n"
	.size	.str, 48

	.type	.str.1,@object                  ; @.str.1
.str.1:
	.asciz	"   Sum of all ranks 0..%d in this tiled_part group is %d\n"
	.size	.str.1, 58

	.type	__hip_cuid_853f11a633332566,@object ; @__hip_cuid_853f11a633332566
	.section	.bss,"aw",@nobits
	.globl	__hip_cuid_853f11a633332566
__hip_cuid_853f11a633332566:
	.byte	0                               ; 0x0
	.size	__hip_cuid_853f11a633332566, 1

	.ident	"AMD clang version 22.0.0git (https://github.com/RadeonOpenCompute/llvm-project roc-7.2.4 26084 f58b06dce1f9c15707c5f808fd002e18c2accf7e)"
	.section	".note.GNU-stack","",@progbits
	.addrsig
	.addrsig_sym __hip_cuid_853f11a633332566
	.amdgpu_metadata
---
amdhsa.kernels:
  - .args:
      - .address_space:  global
        .offset:         0
        .size:           8
        .value_kind:     global_buffer
      - .offset:         8
        .size:           4
        .value_kind:     by_value
      - .offset:         16
        .size:           4
        .value_kind:     hidden_block_count_x
      - .offset:         20
        .size:           4
        .value_kind:     hidden_block_count_y
      - .offset:         24
        .size:           4
        .value_kind:     hidden_block_count_z
      - .offset:         28
        .size:           2
        .value_kind:     hidden_group_size_x
      - .offset:         30
        .size:           2
        .value_kind:     hidden_group_size_y
      - .offset:         32
        .size:           2
        .value_kind:     hidden_group_size_z
      - .offset:         34
        .size:           2
        .value_kind:     hidden_remainder_x
      - .offset:         36
        .size:           2
        .value_kind:     hidden_remainder_y
      - .offset:         38
        .size:           2
        .value_kind:     hidden_remainder_z
      - .offset:         56
        .size:           8
        .value_kind:     hidden_global_offset_x
      - .offset:         64
        .size:           8
        .value_kind:     hidden_global_offset_y
      - .offset:         72
        .size:           8
        .value_kind:     hidden_global_offset_z
      - .offset:         80
        .size:           2
        .value_kind:     hidden_grid_dims
      - .offset:         96
        .size:           8
        .value_kind:     hidden_hostcall_buffer
    .group_segment_fixed_size: 0
    .kernarg_segment_align: 8
    .kernarg_segment_size: 272
    .language:       OpenCL C
    .language_version:
      - 2
      - 0
    .max_flat_workgroup_size: 1024
    .name:           _ZL32kernel_cg_group_partition_staticILj2EEvPi19TiledGroupShflTests
    .private_segment_fixed_size: 12
    .sgpr_count:     28
    .sgpr_spill_count: 0
    .symbol:         _ZL32kernel_cg_group_partition_staticILj2EEvPi19TiledGroupShflTests.kd
    .uniform_work_group_size: 1
    .uses_dynamic_stack: false
    .vgpr_count:     37
    .vgpr_spill_count: 0
    .wavefront_size: 32
  - .args:
      - .address_space:  global
        .offset:         0
        .size:           8
        .value_kind:     global_buffer
      - .offset:         8
        .size:           4
        .value_kind:     by_value
      - .offset:         16
        .size:           4
        .value_kind:     hidden_block_count_x
      - .offset:         20
        .size:           4
        .value_kind:     hidden_block_count_y
      - .offset:         24
        .size:           4
        .value_kind:     hidden_block_count_z
      - .offset:         28
        .size:           2
        .value_kind:     hidden_group_size_x
      - .offset:         30
        .size:           2
        .value_kind:     hidden_group_size_y
      - .offset:         32
        .size:           2
        .value_kind:     hidden_group_size_z
      - .offset:         34
        .size:           2
        .value_kind:     hidden_remainder_x
      - .offset:         36
        .size:           2
        .value_kind:     hidden_remainder_y
      - .offset:         38
        .size:           2
        .value_kind:     hidden_remainder_z
      - .offset:         56
        .size:           8
        .value_kind:     hidden_global_offset_x
      - .offset:         64
        .size:           8
        .value_kind:     hidden_global_offset_y
      - .offset:         72
        .size:           8
        .value_kind:     hidden_global_offset_z
      - .offset:         80
        .size:           2
        .value_kind:     hidden_grid_dims
      - .offset:         96
        .size:           8
        .value_kind:     hidden_hostcall_buffer
    .group_segment_fixed_size: 0
    .kernarg_segment_align: 8
    .kernarg_segment_size: 272
    .language:       OpenCL C
    .language_version:
      - 2
      - 0
    .max_flat_workgroup_size: 1024
    .name:           _ZL32kernel_cg_group_partition_staticILj4EEvPi19TiledGroupShflTests
    .private_segment_fixed_size: 12
    .sgpr_count:     28
    .sgpr_spill_count: 0
    .symbol:         _ZL32kernel_cg_group_partition_staticILj4EEvPi19TiledGroupShflTests.kd
    .uniform_work_group_size: 1
    .uses_dynamic_stack: false
    .vgpr_count:     37
    .vgpr_spill_count: 0
    .wavefront_size: 32
  - .args:
      - .address_space:  global
        .offset:         0
        .size:           8
        .value_kind:     global_buffer
      - .offset:         8
        .size:           4
        .value_kind:     by_value
      - .offset:         16
        .size:           4
        .value_kind:     hidden_block_count_x
      - .offset:         20
        .size:           4
        .value_kind:     hidden_block_count_y
      - .offset:         24
        .size:           4
        .value_kind:     hidden_block_count_z
      - .offset:         28
        .size:           2
        .value_kind:     hidden_group_size_x
      - .offset:         30
        .size:           2
        .value_kind:     hidden_group_size_y
      - .offset:         32
        .size:           2
        .value_kind:     hidden_group_size_z
      - .offset:         34
        .size:           2
        .value_kind:     hidden_remainder_x
      - .offset:         36
        .size:           2
        .value_kind:     hidden_remainder_y
      - .offset:         38
        .size:           2
        .value_kind:     hidden_remainder_z
      - .offset:         56
        .size:           8
        .value_kind:     hidden_global_offset_x
      - .offset:         64
        .size:           8
        .value_kind:     hidden_global_offset_y
      - .offset:         72
        .size:           8
        .value_kind:     hidden_global_offset_z
      - .offset:         80
        .size:           2
        .value_kind:     hidden_grid_dims
      - .offset:         96
        .size:           8
        .value_kind:     hidden_hostcall_buffer
    .group_segment_fixed_size: 0
    .kernarg_segment_align: 8
    .kernarg_segment_size: 272
    .language:       OpenCL C
    .language_version:
      - 2
      - 0
    .max_flat_workgroup_size: 1024
    .name:           _ZL32kernel_cg_group_partition_staticILj8EEvPi19TiledGroupShflTests
    .private_segment_fixed_size: 12
    .sgpr_count:     28
    .sgpr_spill_count: 0
    .symbol:         _ZL32kernel_cg_group_partition_staticILj8EEvPi19TiledGroupShflTests.kd
    .uniform_work_group_size: 1
    .uses_dynamic_stack: false
    .vgpr_count:     37
    .vgpr_spill_count: 0
    .wavefront_size: 32
  - .args:
      - .address_space:  global
        .offset:         0
        .size:           8
        .value_kind:     global_buffer
      - .offset:         8
        .size:           4
        .value_kind:     by_value
      - .offset:         16
        .size:           4
        .value_kind:     hidden_block_count_x
      - .offset:         20
        .size:           4
        .value_kind:     hidden_block_count_y
      - .offset:         24
        .size:           4
        .value_kind:     hidden_block_count_z
      - .offset:         28
        .size:           2
        .value_kind:     hidden_group_size_x
      - .offset:         30
        .size:           2
        .value_kind:     hidden_group_size_y
      - .offset:         32
        .size:           2
        .value_kind:     hidden_group_size_z
      - .offset:         34
        .size:           2
        .value_kind:     hidden_remainder_x
      - .offset:         36
        .size:           2
        .value_kind:     hidden_remainder_y
      - .offset:         38
        .size:           2
        .value_kind:     hidden_remainder_z
      - .offset:         56
        .size:           8
        .value_kind:     hidden_global_offset_x
      - .offset:         64
        .size:           8
        .value_kind:     hidden_global_offset_y
      - .offset:         72
        .size:           8
        .value_kind:     hidden_global_offset_z
      - .offset:         80
        .size:           2
        .value_kind:     hidden_grid_dims
      - .offset:         96
        .size:           8
        .value_kind:     hidden_hostcall_buffer
    .group_segment_fixed_size: 0
    .kernarg_segment_align: 8
    .kernarg_segment_size: 272
    .language:       OpenCL C
    .language_version:
      - 2
      - 0
    .max_flat_workgroup_size: 1024
    .name:           _ZL32kernel_cg_group_partition_staticILj16EEvPi19TiledGroupShflTests
    .private_segment_fixed_size: 12
    .sgpr_count:     28
    .sgpr_spill_count: 0
    .symbol:         _ZL32kernel_cg_group_partition_staticILj16EEvPi19TiledGroupShflTests.kd
    .uniform_work_group_size: 1
    .uses_dynamic_stack: false
    .vgpr_count:     37
    .vgpr_spill_count: 0
    .wavefront_size: 32
  - .args:
      - .address_space:  global
        .offset:         0
        .size:           8
        .value_kind:     global_buffer
      - .offset:         8
        .size:           4
        .value_kind:     by_value
      - .offset:         16
        .size:           4
        .value_kind:     hidden_block_count_x
      - .offset:         20
        .size:           4
        .value_kind:     hidden_block_count_y
      - .offset:         24
        .size:           4
        .value_kind:     hidden_block_count_z
      - .offset:         28
        .size:           2
        .value_kind:     hidden_group_size_x
      - .offset:         30
        .size:           2
        .value_kind:     hidden_group_size_y
      - .offset:         32
        .size:           2
        .value_kind:     hidden_group_size_z
      - .offset:         34
        .size:           2
        .value_kind:     hidden_remainder_x
      - .offset:         36
        .size:           2
        .value_kind:     hidden_remainder_y
      - .offset:         38
        .size:           2
        .value_kind:     hidden_remainder_z
      - .offset:         56
        .size:           8
        .value_kind:     hidden_global_offset_x
      - .offset:         64
        .size:           8
        .value_kind:     hidden_global_offset_y
      - .offset:         72
        .size:           8
        .value_kind:     hidden_global_offset_z
      - .offset:         80
        .size:           2
        .value_kind:     hidden_grid_dims
      - .offset:         96
        .size:           8
        .value_kind:     hidden_hostcall_buffer
    .group_segment_fixed_size: 0
    .kernarg_segment_align: 8
    .kernarg_segment_size: 272
    .language:       OpenCL C
    .language_version:
      - 2
      - 0
    .max_flat_workgroup_size: 1024
    .name:           _ZL32kernel_cg_group_partition_staticILj32EEvPi19TiledGroupShflTests
    .private_segment_fixed_size: 12
    .sgpr_count:     28
    .sgpr_spill_count: 0
    .symbol:         _ZL32kernel_cg_group_partition_staticILj32EEvPi19TiledGroupShflTests.kd
    .uniform_work_group_size: 1
    .uses_dynamic_stack: false
    .vgpr_count:     37
    .vgpr_spill_count: 0
    .wavefront_size: 32
amdhsa.target:   amdgcn-amd-amdhsa--gfx1250
amdhsa.version:
  - 1
  - 2
...

	.end_amdgpu_metadata
